;; amdgpu-corpus repo=ROCm/rocFFT kind=compiled arch=gfx1030 opt=O3
	.text
	.amdgcn_target "amdgcn-amd-amdhsa--gfx1030"
	.amdhsa_code_object_version 6
	.protected	fft_rtc_fwd_len2016_factors_2_2_2_2_2_3_3_7_wgs_224_tpt_112_halfLds_sp_op_CI_CI_sbrr_dirReg ; -- Begin function fft_rtc_fwd_len2016_factors_2_2_2_2_2_3_3_7_wgs_224_tpt_112_halfLds_sp_op_CI_CI_sbrr_dirReg
	.globl	fft_rtc_fwd_len2016_factors_2_2_2_2_2_3_3_7_wgs_224_tpt_112_halfLds_sp_op_CI_CI_sbrr_dirReg
	.p2align	8
	.type	fft_rtc_fwd_len2016_factors_2_2_2_2_2_3_3_7_wgs_224_tpt_112_halfLds_sp_op_CI_CI_sbrr_dirReg,@function
fft_rtc_fwd_len2016_factors_2_2_2_2_2_3_3_7_wgs_224_tpt_112_halfLds_sp_op_CI_CI_sbrr_dirReg: ; @fft_rtc_fwd_len2016_factors_2_2_2_2_2_3_3_7_wgs_224_tpt_112_halfLds_sp_op_CI_CI_sbrr_dirReg
; %bb.0:
	s_clause 0x2
	s_load_dwordx4 s[16:19], s[4:5], 0x18
	s_load_dwordx4 s[8:11], s[4:5], 0x0
	;; [unrolled: 1-line block ×3, first 2 shown]
	v_mul_u32_u24_e32 v1, 0x24a, v0
	v_mov_b32_e32 v5, 0
	v_mov_b32_e32 v6, 0
	s_waitcnt lgkmcnt(0)
	s_load_dwordx2 s[20:21], s[16:17], 0x0
	s_load_dwordx2 s[2:3], s[18:19], 0x0
	v_lshrrev_b32_e32 v23, 16, v1
	v_mov_b32_e32 v1, 0
	v_cmp_lt_u64_e64 s0, s[10:11], 2
	v_lshl_add_u32 v3, s6, 1, v23
	v_mov_b32_e32 v4, v1
	s_and_b32 vcc_lo, exec_lo, s0
	s_cbranch_vccnz .LBB0_8
; %bb.1:
	s_load_dwordx2 s[0:1], s[4:5], 0x10
	v_mov_b32_e32 v5, 0
	v_mov_b32_e32 v6, 0
	s_add_u32 s6, s18, 8
	s_addc_u32 s7, s19, 0
	s_add_u32 s22, s16, 8
	s_addc_u32 s23, s17, 0
	v_mov_b32_e32 v25, v6
	v_mov_b32_e32 v24, v5
	s_mov_b64 s[26:27], 1
	s_waitcnt lgkmcnt(0)
	s_add_u32 s24, s0, 8
	s_addc_u32 s25, s1, 0
.LBB0_2:                                ; =>This Inner Loop Header: Depth=1
	s_load_dwordx2 s[28:29], s[24:25], 0x0
                                        ; implicit-def: $vgpr26_vgpr27
	s_mov_b32 s0, exec_lo
	s_waitcnt lgkmcnt(0)
	v_or_b32_e32 v2, s29, v4
	v_cmpx_ne_u64_e32 0, v[1:2]
	s_xor_b32 s1, exec_lo, s0
	s_cbranch_execz .LBB0_4
; %bb.3:                                ;   in Loop: Header=BB0_2 Depth=1
	v_cvt_f32_u32_e32 v2, s28
	v_cvt_f32_u32_e32 v7, s29
	s_sub_u32 s0, 0, s28
	s_subb_u32 s30, 0, s29
	v_fmac_f32_e32 v2, 0x4f800000, v7
	v_rcp_f32_e32 v2, v2
	v_mul_f32_e32 v2, 0x5f7ffffc, v2
	v_mul_f32_e32 v7, 0x2f800000, v2
	v_trunc_f32_e32 v7, v7
	v_fmac_f32_e32 v2, 0xcf800000, v7
	v_cvt_u32_f32_e32 v7, v7
	v_cvt_u32_f32_e32 v2, v2
	v_mul_lo_u32 v8, s0, v7
	v_mul_hi_u32 v9, s0, v2
	v_mul_lo_u32 v10, s30, v2
	v_add_nc_u32_e32 v8, v9, v8
	v_mul_lo_u32 v9, s0, v2
	v_add_nc_u32_e32 v8, v8, v10
	v_mul_hi_u32 v10, v2, v9
	v_mul_lo_u32 v11, v2, v8
	v_mul_hi_u32 v12, v2, v8
	v_mul_hi_u32 v13, v7, v9
	v_mul_lo_u32 v9, v7, v9
	v_mul_hi_u32 v14, v7, v8
	v_mul_lo_u32 v8, v7, v8
	v_add_co_u32 v10, vcc_lo, v10, v11
	v_add_co_ci_u32_e32 v11, vcc_lo, 0, v12, vcc_lo
	v_add_co_u32 v9, vcc_lo, v10, v9
	v_add_co_ci_u32_e32 v9, vcc_lo, v11, v13, vcc_lo
	v_add_co_ci_u32_e32 v10, vcc_lo, 0, v14, vcc_lo
	v_add_co_u32 v8, vcc_lo, v9, v8
	v_add_co_ci_u32_e32 v9, vcc_lo, 0, v10, vcc_lo
	v_add_co_u32 v2, vcc_lo, v2, v8
	v_add_co_ci_u32_e32 v7, vcc_lo, v7, v9, vcc_lo
	v_mul_hi_u32 v8, s0, v2
	v_mul_lo_u32 v10, s30, v2
	v_mul_lo_u32 v9, s0, v7
	v_add_nc_u32_e32 v8, v8, v9
	v_mul_lo_u32 v9, s0, v2
	v_add_nc_u32_e32 v8, v8, v10
	v_mul_hi_u32 v10, v2, v9
	v_mul_lo_u32 v11, v2, v8
	v_mul_hi_u32 v12, v2, v8
	v_mul_hi_u32 v13, v7, v9
	v_mul_lo_u32 v9, v7, v9
	v_mul_hi_u32 v14, v7, v8
	v_mul_lo_u32 v8, v7, v8
	v_add_co_u32 v10, vcc_lo, v10, v11
	v_add_co_ci_u32_e32 v11, vcc_lo, 0, v12, vcc_lo
	v_add_co_u32 v9, vcc_lo, v10, v9
	v_add_co_ci_u32_e32 v9, vcc_lo, v11, v13, vcc_lo
	v_add_co_ci_u32_e32 v10, vcc_lo, 0, v14, vcc_lo
	v_add_co_u32 v8, vcc_lo, v9, v8
	v_add_co_ci_u32_e32 v9, vcc_lo, 0, v10, vcc_lo
	v_add_co_u32 v2, vcc_lo, v2, v8
	v_add_co_ci_u32_e32 v11, vcc_lo, v7, v9, vcc_lo
	v_mul_hi_u32 v13, v3, v2
	v_mad_u64_u32 v[9:10], null, v4, v2, 0
	v_mad_u64_u32 v[7:8], null, v3, v11, 0
	;; [unrolled: 1-line block ×3, first 2 shown]
	v_add_co_u32 v2, vcc_lo, v13, v7
	v_add_co_ci_u32_e32 v7, vcc_lo, 0, v8, vcc_lo
	v_add_co_u32 v2, vcc_lo, v2, v9
	v_add_co_ci_u32_e32 v2, vcc_lo, v7, v10, vcc_lo
	v_add_co_ci_u32_e32 v7, vcc_lo, 0, v12, vcc_lo
	v_add_co_u32 v2, vcc_lo, v2, v11
	v_add_co_ci_u32_e32 v9, vcc_lo, 0, v7, vcc_lo
	v_mul_lo_u32 v10, s29, v2
	v_mad_u64_u32 v[7:8], null, s28, v2, 0
	v_mul_lo_u32 v11, s28, v9
	v_sub_co_u32 v7, vcc_lo, v3, v7
	v_add3_u32 v8, v8, v11, v10
	v_sub_nc_u32_e32 v10, v4, v8
	v_subrev_co_ci_u32_e64 v10, s0, s29, v10, vcc_lo
	v_add_co_u32 v11, s0, v2, 2
	v_add_co_ci_u32_e64 v12, s0, 0, v9, s0
	v_sub_co_u32 v13, s0, v7, s28
	v_sub_co_ci_u32_e32 v8, vcc_lo, v4, v8, vcc_lo
	v_subrev_co_ci_u32_e64 v10, s0, 0, v10, s0
	v_cmp_le_u32_e32 vcc_lo, s28, v13
	v_cmp_eq_u32_e64 s0, s29, v8
	v_cndmask_b32_e64 v13, 0, -1, vcc_lo
	v_cmp_le_u32_e32 vcc_lo, s29, v10
	v_cndmask_b32_e64 v14, 0, -1, vcc_lo
	v_cmp_le_u32_e32 vcc_lo, s28, v7
	v_cndmask_b32_e64 v7, 0, -1, vcc_lo
	v_cmp_le_u32_e32 vcc_lo, s29, v8
	v_cndmask_b32_e64 v15, 0, -1, vcc_lo
	v_cmp_eq_u32_e32 vcc_lo, s29, v10
	v_cndmask_b32_e64 v7, v15, v7, s0
	v_cndmask_b32_e32 v10, v14, v13, vcc_lo
	v_add_co_u32 v13, vcc_lo, v2, 1
	v_add_co_ci_u32_e32 v14, vcc_lo, 0, v9, vcc_lo
	v_cmp_ne_u32_e32 vcc_lo, 0, v10
	v_cndmask_b32_e32 v8, v14, v12, vcc_lo
	v_cndmask_b32_e32 v10, v13, v11, vcc_lo
	v_cmp_ne_u32_e32 vcc_lo, 0, v7
	v_cndmask_b32_e32 v27, v9, v8, vcc_lo
	v_cndmask_b32_e32 v26, v2, v10, vcc_lo
.LBB0_4:                                ;   in Loop: Header=BB0_2 Depth=1
	s_andn2_saveexec_b32 s0, s1
	s_cbranch_execz .LBB0_6
; %bb.5:                                ;   in Loop: Header=BB0_2 Depth=1
	v_cvt_f32_u32_e32 v2, s28
	s_sub_i32 s1, 0, s28
	v_mov_b32_e32 v27, v1
	v_rcp_iflag_f32_e32 v2, v2
	v_mul_f32_e32 v2, 0x4f7ffffe, v2
	v_cvt_u32_f32_e32 v2, v2
	v_mul_lo_u32 v7, s1, v2
	v_mul_hi_u32 v7, v2, v7
	v_add_nc_u32_e32 v2, v2, v7
	v_mul_hi_u32 v2, v3, v2
	v_mul_lo_u32 v7, v2, s28
	v_add_nc_u32_e32 v8, 1, v2
	v_sub_nc_u32_e32 v7, v3, v7
	v_subrev_nc_u32_e32 v9, s28, v7
	v_cmp_le_u32_e32 vcc_lo, s28, v7
	v_cndmask_b32_e32 v7, v7, v9, vcc_lo
	v_cndmask_b32_e32 v2, v2, v8, vcc_lo
	v_cmp_le_u32_e32 vcc_lo, s28, v7
	v_add_nc_u32_e32 v8, 1, v2
	v_cndmask_b32_e32 v26, v2, v8, vcc_lo
.LBB0_6:                                ;   in Loop: Header=BB0_2 Depth=1
	s_or_b32 exec_lo, exec_lo, s0
	v_mul_lo_u32 v2, v27, s28
	v_mul_lo_u32 v9, v26, s29
	s_load_dwordx2 s[0:1], s[22:23], 0x0
	v_mad_u64_u32 v[7:8], null, v26, s28, 0
	s_load_dwordx2 s[28:29], s[6:7], 0x0
	s_add_u32 s26, s26, 1
	s_addc_u32 s27, s27, 0
	s_add_u32 s6, s6, 8
	s_addc_u32 s7, s7, 0
	s_add_u32 s22, s22, 8
	v_add3_u32 v2, v8, v9, v2
	v_sub_co_u32 v3, vcc_lo, v3, v7
	s_addc_u32 s23, s23, 0
	s_add_u32 s24, s24, 8
	v_sub_co_ci_u32_e32 v2, vcc_lo, v4, v2, vcc_lo
	s_addc_u32 s25, s25, 0
	s_waitcnt lgkmcnt(0)
	v_mul_lo_u32 v4, s0, v2
	v_mul_lo_u32 v7, s1, v3
	v_mad_u64_u32 v[5:6], null, s0, v3, v[5:6]
	v_mul_lo_u32 v2, s28, v2
	v_mul_lo_u32 v8, s29, v3
	v_mad_u64_u32 v[24:25], null, s28, v3, v[24:25]
	v_cmp_ge_u64_e64 s0, s[26:27], s[10:11]
	v_add3_u32 v6, v7, v6, v4
	v_add3_u32 v25, v8, v25, v2
	s_and_b32 vcc_lo, exec_lo, s0
	s_cbranch_vccnz .LBB0_9
; %bb.7:                                ;   in Loop: Header=BB0_2 Depth=1
	v_mov_b32_e32 v3, v26
	v_mov_b32_e32 v4, v27
	s_branch .LBB0_2
.LBB0_8:
	v_mov_b32_e32 v25, v6
	v_mov_b32_e32 v27, v4
	;; [unrolled: 1-line block ×4, first 2 shown]
.LBB0_9:
	s_load_dwordx2 s[0:1], s[4:5], 0x28
	v_mul_hi_u32 v3, 0x2492493, v0
	s_lshl_b64 s[6:7], s[10:11], 3
                                        ; implicit-def: $sgpr10_sgpr11
                                        ; implicit-def: $vgpr56
                                        ; implicit-def: $vgpr54
                                        ; implicit-def: $vgpr57
                                        ; implicit-def: $vgpr45
                                        ; implicit-def: $vgpr46
                                        ; implicit-def: $vgpr44
                                        ; implicit-def: $vgpr49
                                        ; implicit-def: $vgpr51
                                        ; implicit-def: $vgpr53
	s_add_u32 s4, s18, s6
	s_addc_u32 s5, s19, s7
	s_waitcnt lgkmcnt(0)
	v_cmp_gt_u64_e32 vcc_lo, s[0:1], v[26:27]
	v_cmp_le_u64_e64 s0, s[0:1], v[26:27]
	s_and_saveexec_b32 s1, s0
	s_xor_b32 s0, exec_lo, s1
; %bb.10:
	v_mul_u32_u24_e32 v1, 0x70, v3
	s_mov_b64 s[10:11], 0
                                        ; implicit-def: $vgpr3
                                        ; implicit-def: $vgpr5_vgpr6
	v_sub_nc_u32_e32 v56, v0, v1
                                        ; implicit-def: $vgpr0
	v_add_nc_u32_e32 v54, 0x70, v56
	v_add_nc_u32_e32 v57, 0xe0, v56
	;; [unrolled: 1-line block ×7, first 2 shown]
	v_or_b32_e32 v53, 0x380, v56
; %bb.11:
	s_or_saveexec_b32 s1, s0
	v_mov_b32_e32 v20, s11
	v_mov_b32_e32 v1, s10
	;; [unrolled: 1-line block ×18, first 2 shown]
                                        ; implicit-def: $vgpr33
                                        ; implicit-def: $vgpr12
                                        ; implicit-def: $vgpr22
                                        ; implicit-def: $vgpr29
                                        ; implicit-def: $vgpr39
                                        ; implicit-def: $vgpr43
                                        ; implicit-def: $vgpr41
                                        ; implicit-def: $vgpr14
                                        ; implicit-def: $vgpr4
	s_xor_b32 exec_lo, exec_lo, s1
	s_cbranch_execz .LBB0_13
; %bb.12:
	s_add_u32 s6, s16, s6
	s_addc_u32 s7, s17, s7
	v_mul_u32_u24_e32 v1, 0x70, v3
	s_load_dwordx2 s[6:7], s[6:7], 0x0
	v_lshlrev_b64 v[4:5], 3, v[5:6]
	v_sub_nc_u32_e32 v56, v0, v1
	v_add_nc_u32_e32 v15, 0x3f0, v56
	v_add_nc_u32_e32 v17, 0x460, v56
	v_mad_u64_u32 v[0:1], null, s20, v56, 0
	v_add_nc_u32_e32 v54, 0x70, v56
	v_mad_u64_u32 v[2:3], null, s20, v15, 0
	v_mad_u64_u32 v[9:10], null, s20, v17, 0
	;; [unrolled: 1-line block ×3, first 2 shown]
	s_waitcnt lgkmcnt(0)
	v_mul_lo_u32 v16, s7, v26
	v_mul_lo_u32 v18, s6, v27
	v_mad_u64_u32 v[11:12], null, s6, v26, 0
	v_mad_u64_u32 v[13:14], null, s21, v56, v[1:2]
	v_mov_b32_e32 v6, v10
	v_mov_b32_e32 v1, v3
	;; [unrolled: 1-line block ×3, first 2 shown]
	v_add_nc_u32_e32 v57, 0xe0, v56
	v_add3_u32 v12, v12, v18, v16
	v_add_nc_u32_e32 v45, 0x150, v56
	v_mad_u64_u32 v[14:15], null, s21, v15, v[1:2]
	v_mov_b32_e32 v1, v13
	v_lshlrev_b64 v[10:11], 3, v[11:12]
	v_mad_u64_u32 v[12:13], null, s21, v17, v[6:7]
	v_mad_u64_u32 v[15:16], null, s21, v54, v[3:4]
	v_mov_b32_e32 v3, v14
	v_add_co_u32 v6, s0, s12, v10
	v_add_co_ci_u32_e64 v10, s0, s13, v11, s0
	v_lshlrev_b64 v[0:1], 3, v[0:1]
	v_add_co_u32 v50, s0, v6, v4
	v_add_co_ci_u32_e64 v52, s0, v10, v5, s0
	v_mad_u64_u32 v[5:6], null, s20, v57, 0
	v_mov_b32_e32 v8, v15
	v_add_nc_u32_e32 v16, 0x4d0, v56
	v_lshlrev_b64 v[2:3], 3, v[2:3]
	v_mov_b32_e32 v10, v12
	v_add_co_u32 v0, s0, v50, v0
	v_mov_b32_e32 v4, v6
	v_lshlrev_b64 v[7:8], 3, v[7:8]
	v_mad_u64_u32 v[11:12], null, s20, v16, 0
	v_add_co_ci_u32_e64 v1, s0, v52, v1, s0
	v_add_co_u32 v2, s0, v50, v2
	v_lshlrev_b64 v[9:10], 3, v[9:10]
	v_mad_u64_u32 v[13:14], null, s21, v57, v[4:5]
	v_add_co_ci_u32_e64 v3, s0, v52, v3, s0
	v_mad_u64_u32 v[14:15], null, s20, v45, 0
	v_add_co_u32 v7, s0, v50, v7
	v_add_co_ci_u32_e64 v8, s0, v52, v8, s0
	v_mov_b32_e32 v4, v12
	v_add_co_u32 v9, s0, v50, v9
	v_add_co_ci_u32_e64 v10, s0, v52, v10, s0
	v_mov_b32_e32 v12, v15
	v_mad_u64_u32 v[15:16], null, s21, v16, v[4:5]
	s_clause 0x3
	global_load_dwordx2 v[19:20], v[0:1], off
	global_load_dwordx2 v[32:33], v[2:3], off
	;; [unrolled: 1-line block ×4, first 2 shown]
	v_mov_b32_e32 v6, v13
	v_mad_u64_u32 v[16:17], null, s21, v45, v[12:13]
	v_add_nc_u32_e32 v13, 0x540, v56
	v_add_nc_u32_e32 v46, 0x1c0, v56
	v_mov_b32_e32 v12, v15
	v_add_nc_u32_e32 v28, 0x5b0, v56
	v_lshlrev_b64 v[5:6], 3, v[5:6]
	v_mad_u64_u32 v[7:8], null, s20, v13, 0
	v_mov_b32_e32 v15, v16
	v_lshlrev_b64 v[9:10], 3, v[11:12]
	v_mad_u64_u32 v[17:18], null, s20, v28, 0
	v_add_co_u32 v5, s0, v50, v5
	v_mov_b32_e32 v0, v8
	v_lshlrev_b64 v[11:12], 3, v[14:15]
	v_mad_u64_u32 v[15:16], null, s20, v46, 0
	v_add_nc_u32_e32 v44, 0x230, v56
	v_add_nc_u32_e32 v34, 0x620, v56
	v_add_co_ci_u32_e64 v6, s0, v52, v6, s0
	v_add_co_u32 v9, s0, v50, v9
	v_add_co_ci_u32_e64 v10, s0, v52, v10, s0
	v_mad_u64_u32 v[30:31], null, s20, v34, 0
	v_add_co_u32 v11, s0, v50, v11
	v_add_co_ci_u32_e64 v12, s0, v52, v12, s0
	v_add_nc_u32_e32 v49, 0x2a0, v56
	v_add_nc_u32_e32 v42, 0x690, v56
	;; [unrolled: 1-line block ×3, first 2 shown]
	v_or_b32_e32 v55, 0x700, v56
	v_or_b32_e32 v53, 0x380, v56
	v_add_nc_u32_e32 v58, 0x770, v56
	v_mad_u64_u32 v[40:41], null, s20, v51, 0
	v_mad_u64_u32 v[47:48], null, s20, v55, 0
	s_waitcnt vmcnt(1)
	v_mad_u64_u32 v[13:14], null, s21, v13, v[0:1]
	v_mov_b32_e32 v0, v16
	v_mad_u64_u32 v[21:22], null, s21, v46, v[0:1]
	v_mov_b32_e32 v8, v13
	v_mov_b32_e32 v13, v18
	v_lshlrev_b64 v[7:8], 3, v[7:8]
	v_mad_u64_u32 v[13:14], null, s21, v28, v[13:14]
	v_mov_b32_e32 v16, v21
	v_mad_u64_u32 v[21:22], null, s20, v44, 0
	v_add_co_u32 v28, s0, v50, v7
	v_add_co_ci_u32_e64 v29, s0, v52, v8, s0
	v_mov_b32_e32 v18, v13
	s_clause 0x3
	global_load_dwordx2 v[7:8], v[5:6], off
	global_load_dwordx2 v[13:14], v[9:10], off
	;; [unrolled: 1-line block ×4, first 2 shown]
	v_lshlrev_b64 v[5:6], 3, v[15:16]
	v_mov_b32_e32 v0, v22
	v_lshlrev_b64 v[15:16], 3, v[17:18]
	v_mov_b32_e32 v17, v31
	v_mad_u64_u32 v[28:29], null, s21, v44, v[0:1]
	v_add_co_u32 v5, s0, v50, v5
	v_mad_u64_u32 v[17:18], null, s21, v34, v[17:18]
	v_mad_u64_u32 v[34:35], null, s20, v49, 0
	v_mov_b32_e32 v22, v28
	v_add_co_ci_u32_e64 v6, s0, v52, v6, s0
	v_mov_b32_e32 v31, v17
	v_add_co_u32 v17, s0, v50, v15
	v_add_co_ci_u32_e64 v18, s0, v52, v16, s0
	v_mov_b32_e32 v0, v35
	v_lshlrev_b64 v[15:16], 3, v[21:22]
	v_lshlrev_b64 v[21:22], 3, v[30:31]
	v_mad_u64_u32 v[30:31], null, s20, v42, 0
	v_mad_u64_u32 v[28:29], null, s21, v49, v[0:1]
	v_add_co_u32 v36, s0, v50, v15
	v_add_co_ci_u32_e64 v37, s0, v52, v16, s0
	v_mov_b32_e32 v0, v31
	v_add_co_u32 v38, s0, v50, v21
	v_mov_b32_e32 v35, v28
	v_add_co_ci_u32_e64 v39, s0, v52, v22, s0
	v_mad_u64_u32 v[42:43], null, s21, v42, v[0:1]
	v_mov_b32_e32 v0, v41
	s_clause 0x3
	global_load_dwordx2 v[15:16], v[5:6], off
	global_load_dwordx2 v[21:22], v[17:18], off
	;; [unrolled: 1-line block ×4, first 2 shown]
	v_lshlrev_b64 v[5:6], 3, v[34:35]
	v_mad_u64_u32 v[34:35], null, s21, v51, v[0:1]
	v_mov_b32_e32 v0, v48
	v_mad_u64_u32 v[35:36], null, s20, v53, 0
	v_mov_b32_e32 v31, v42
	v_add_co_u32 v5, s0, v50, v5
	v_mad_u64_u32 v[37:38], null, s21, v55, v[0:1]
	v_mad_u64_u32 v[38:39], null, s20, v58, 0
	v_lshlrev_b64 v[30:31], 3, v[30:31]
	v_mov_b32_e32 v0, v36
	v_mov_b32_e32 v41, v34
	v_add_co_ci_u32_e64 v6, s0, v52, v6, s0
	v_mov_b32_e32 v48, v37
	v_mad_u64_u32 v[36:37], null, s21, v53, v[0:1]
	v_mov_b32_e32 v0, v39
	v_add_co_u32 v42, s0, v50, v30
	v_add_co_ci_u32_e64 v43, s0, v52, v31, s0
	v_lshlrev_b64 v[30:31], 3, v[40:41]
	v_mad_u64_u32 v[39:40], null, s21, v58, v[0:1]
	v_lshlrev_b64 v[40:41], 3, v[47:48]
	v_add_co_u32 v47, s0, v50, v30
	v_add_co_ci_u32_e64 v48, s0, v52, v31, s0
	v_lshlrev_b64 v[30:31], 3, v[35:36]
	v_add_co_u32 v36, s0, v50, v40
	v_lshlrev_b64 v[34:35], 3, v[38:39]
	v_add_co_ci_u32_e64 v37, s0, v52, v41, s0
	v_add_co_u32 v58, s0, v50, v30
	v_add_co_ci_u32_e64 v59, s0, v52, v31, s0
	v_add_co_u32 v60, s0, v50, v34
	v_add_co_ci_u32_e64 v61, s0, v52, v35, s0
	s_clause 0x5
	global_load_dwordx2 v[30:31], v[5:6], off
	global_load_dwordx2 v[40:41], v[42:43], off
	;; [unrolled: 1-line block ×6, first 2 shown]
.LBB0_13:
	s_or_b32 exec_lo, exec_lo, s1
	v_and_b32_e32 v0, 1, v23
	v_sub_f32_e32 v6, v19, v32
	s_waitcnt vmcnt(14)
	v_sub_f32_e32 v59, v1, v3
	s_waitcnt vmcnt(12)
	v_sub_f32_e32 v63, v7, v13
	v_sub_f32_e32 v61, v20, v33
	v_cmp_eq_u32_e64 s0, 1, v0
	v_fma_f32 v5, v19, 2.0, -v6
	v_fma_f32 v58, v1, 2.0, -v59
	s_waitcnt vmcnt(10)
	v_sub_f32_e32 v1, v9, v11
	v_fma_f32 v62, v7, 2.0, -v63
	v_cndmask_b32_e64 v32, 0, 0x1f80, s0
	v_fma_f32 v60, v20, 2.0, -v61
	s_waitcnt vmcnt(8)
	v_sub_f32_e32 v20, v15, v21
	v_fma_f32 v0, v9, 2.0, -v1
	s_waitcnt vmcnt(6)
	v_sub_f32_e32 v65, v17, v28
	v_add_nc_u32_e32 v48, 0, v32
	s_waitcnt vmcnt(2)
	v_sub_f32_e32 v21, v34, v38
	v_fma_f32 v19, v15, 2.0, -v20
	v_lshlrev_b32_e32 v3, 2, v56
	v_fma_f32 v64, v17, 2.0, -v65
	v_lshl_add_u32 v7, v56, 3, v48
	v_lshl_add_u32 v11, v57, 3, v48
	;; [unrolled: 1-line block ×5, first 2 shown]
	ds_write_b64 v7, v[5:6]
	ds_write_b64 v9, v[58:59]
	v_sub_f32_e32 v6, v30, v40
	ds_write_b64 v11, v[62:63]
	ds_write_b64 v13, v[0:1]
	s_waitcnt vmcnt(0)
	v_sub_f32_e32 v1, v36, v42
	v_lshl_add_u32 v17, v44, 3, v48
	v_fma_f32 v5, v30, 2.0, -v6
	v_lshl_add_u32 v23, v49, 3, v48
	v_lshl_add_u32 v69, v53, 3, v48
	v_fma_f32 v0, v36, 2.0, -v1
	ds_write_b64 v15, v[19:20]
	v_fma_f32 v20, v34, 2.0, -v21
	v_lshl_add_u32 v68, v51, 3, v48
	ds_write_b64 v17, v[64:65]
	s_load_dwordx2 s[4:5], s[4:5], 0x0
	ds_write_b64 v23, v[5:6]
	ds_write_b64 v68, v[20:21]
	ds_write_b64 v69, v[0:1]
	v_lshlrev_b32_e32 v1, 2, v44
	v_add_nc_u32_e32 v40, v48, v3
	v_add3_u32 v55, 0, v3, v32
	v_lshlrev_b32_e32 v3, 2, v53
	v_lshlrev_b32_e32 v5, 2, v49
	;; [unrolled: 1-line block ×4, first 2 shown]
	v_sub_nc_u32_e32 v30, v17, v1
	v_sub_f32_e32 v1, v2, v4
	v_sub_nc_u32_e32 v36, v69, v3
	v_sub_f32_e32 v3, v8, v14
	;; [unrolled: 2-line block ×3, first 2 shown]
	v_sub_nc_u32_e32 v34, v68, v6
	v_lshl_add_u32 v38, v45, 2, v48
	v_sub_nc_u32_e32 v28, v15, v0
	v_fma_f32 v0, v2, 2.0, -v1
	v_lshl_add_u32 v58, v57, 2, v48
	v_fma_f32 v2, v8, 2.0, -v3
	v_lshl_add_u32 v59, v54, 2, v48
	v_fma_f32 v4, v10, 2.0, -v5
	s_waitcnt lgkmcnt(0)
	s_barrier
	buffer_gl0_inv
	ds_read_b32 v21, v40
	v_add_nc_u32_e32 v47, 0xe00, v55
	v_add_nc_u32_e32 v42, 0x1200, v55
	;; [unrolled: 1-line block ×3, first 2 shown]
	ds_read_b32 v70, v38
	ds_read_b32 v71, v28
	;; [unrolled: 1-line block ×4, first 2 shown]
	v_add_nc_u32_e32 v52, 0x1a00, v55
	ds_read_b32 v74, v34
	ds_read_b32 v75, v36
	;; [unrolled: 1-line block ×4, first 2 shown]
	ds_read_b32 v78, v55 offset:7616
	ds_read2_b32 v[19:20], v47 offset0:112 offset1:224
	ds_read2_b32 v[62:63], v42 offset0:80 offset1:192
	;; [unrolled: 1-line block ×4, first 2 shown]
	s_waitcnt lgkmcnt(0)
	s_barrier
	buffer_gl0_inv
	ds_write_b64 v7, v[60:61]
	ds_write_b64 v9, v[0:1]
	ds_write_b64 v11, v[2:3]
	ds_write_b64 v13, v[4:5]
	v_sub_f32_e32 v1, v16, v22
	v_sub_f32_e32 v3, v18, v29
	;; [unrolled: 1-line block ×5, first 2 shown]
	v_fma_f32 v0, v16, 2.0, -v1
	v_and_b32_e32 v11, 1, v56
	v_fma_f32 v2, v18, 2.0, -v3
	v_fma_f32 v4, v31, 2.0, -v5
	;; [unrolled: 1-line block ×4, first 2 shown]
	ds_write_b64 v15, v[0:1]
	ds_write_b64 v17, v[2:3]
	;; [unrolled: 1-line block ×4, first 2 shown]
	v_lshlrev_b32_e32 v0, 3, v11
	v_lshlrev_b32_e32 v1, 1, v54
	;; [unrolled: 1-line block ×3, first 2 shown]
	ds_write_b64 v69, v[8:9]
	s_waitcnt lgkmcnt(0)
	s_barrier
	buffer_gl0_inv
	global_load_dwordx2 v[9:10], v0, s[8:9]
	v_lshlrev_b32_e32 v0, 1, v56
	v_lshlrev_b32_e32 v3, 1, v45
	;; [unrolled: 1-line block ×7, first 2 shown]
	v_and_or_b32 v12, 0xfc, v0, v11
	v_and_or_b32 v13, 0x1fc, v1, v11
	;; [unrolled: 1-line block ×9, first 2 shown]
	v_lshl_add_u32 v35, v12, 2, v48
	ds_read2_b32 v[11:12], v47 offset0:112 offset1:224
	v_lshl_add_u32 v37, v13, 2, v48
	v_lshl_add_u32 v39, v14, 2, v48
	v_lshl_add_u32 v41, v15, 2, v48
	v_lshl_add_u32 v43, v16, 2, v48
	v_lshl_add_u32 v49, v17, 2, v48
	v_lshl_add_u32 v51, v18, 2, v48
	ds_read2_b32 v[13:14], v42 offset0:80 offset1:192
	ds_read2_b32 v[15:16], v50 offset0:48 offset1:160
	;; [unrolled: 1-line block ×3, first 2 shown]
	ds_read_b32 v53, v38
	ds_read_b32 v60, v28
	;; [unrolled: 1-line block ×6, first 2 shown]
	ds_read_b32 v80, v55 offset:7616
	ds_read_b32 v81, v40
	ds_read_b32 v82, v34
	;; [unrolled: 1-line block ×3, first 2 shown]
	v_and_b32_e32 v22, 3, v56
	v_lshl_add_u32 v23, v23, 2, v48
	v_lshl_add_u32 v29, v29, 2, v48
	s_waitcnt vmcnt(0) lgkmcnt(0)
	s_barrier
	v_lshlrev_b32_e32 v31, 3, v22
	buffer_gl0_inv
	v_cmp_gt_u32_e64 s0, 0x60, v56
	v_mul_f32_e32 v84, v11, v10
	v_mul_f32_e32 v85, v19, v10
	;; [unrolled: 1-line block ×12, first 2 shown]
	v_fma_f32 v19, v19, v9, -v84
	v_mul_f32_e32 v84, v17, v10
	v_fmac_f32_e32 v85, v11, v9
	v_mul_f32_e32 v11, v18, v10
	v_fma_f32 v62, v62, v9, -v88
	v_mul_f32_e32 v88, v80, v10
	v_fma_f32 v20, v20, v9, -v86
	v_mul_f32_e32 v86, v66, v10
	v_fmac_f32_e32 v87, v12, v9
	v_mul_f32_e32 v12, v67, v10
	v_mul_f32_e32 v10, v78, v10
	v_fma_f32 v63, v63, v9, -v90
	v_fmac_f32_e32 v89, v13, v9
	v_fmac_f32_e32 v91, v14, v9
	v_fma_f32 v13, v64, v9, -v92
	v_fma_f32 v14, v65, v9, -v94
	v_fmac_f32_e32 v93, v15, v9
	v_fmac_f32_e32 v95, v16, v9
	v_fma_f32 v15, v66, v9, -v84
	v_fma_f32 v11, v67, v9, -v11
	v_fma_f32 v16, v78, v9, -v88
	v_fmac_f32_e32 v86, v17, v9
	v_fmac_f32_e32 v12, v18, v9
	;; [unrolled: 1-line block ×3, first 2 shown]
	v_sub_f32_e32 v9, v21, v19
	v_sub_f32_e32 v17, v77, v20
	;; [unrolled: 1-line block ×18, first 2 shown]
	v_fma_f32 v10, v21, 2.0, -v9
	v_fma_f32 v21, v76, 2.0, -v18
	;; [unrolled: 1-line block ×18, first 2 shown]
	ds_write2_b32 v35, v10, v9 offset1:2
	ds_write2_b32 v37, v12, v17 offset1:2
	;; [unrolled: 1-line block ×9, first 2 shown]
	s_waitcnt lgkmcnt(0)
	s_barrier
	buffer_gl0_inv
	ds_read_b32 v70, v40
	ds_read_b32 v71, v38
	;; [unrolled: 1-line block ×9, first 2 shown]
	ds_read_b32 v85, v55 offset:7616
	ds_read2_b32 v[9:10], v47 offset0:112 offset1:224
	ds_read2_b32 v[11:12], v42 offset0:80 offset1:192
	;; [unrolled: 1-line block ×4, first 2 shown]
	s_waitcnt lgkmcnt(0)
	s_barrier
	buffer_gl0_inv
	ds_write2_b32 v35, v76, v20 offset1:2
	ds_write2_b32 v37, v77, v62 offset1:2
	;; [unrolled: 1-line block ×9, first 2 shown]
	s_waitcnt lgkmcnt(0)
	s_barrier
	buffer_gl0_inv
	global_load_dwordx2 v[17:18], v31, s[8:9] offset:16
	v_and_or_b32 v19, 0xf8, v0, v22
	v_and_or_b32 v20, 0x1f8, v1, v22
	;; [unrolled: 1-line block ×9, first 2 shown]
	v_lshl_add_u32 v43, v19, 2, v48
	v_lshl_add_u32 v49, v20, 2, v48
	ds_read2_b32 v[19:20], v47 offset0:112 offset1:224
	v_lshl_add_u32 v51, v21, 2, v48
	v_lshl_add_u32 v53, v22, 2, v48
	ds_read2_b32 v[21:22], v42 offset0:80 offset1:192
	ds_read2_b32 v[60:61], v50 offset0:48 offset1:160
	;; [unrolled: 1-line block ×3, first 2 shown]
	ds_read_b32 v64, v38
	ds_read_b32 v65, v28
	;; [unrolled: 1-line block ×6, first 2 shown]
	ds_read_b32 v76, v55 offset:7616
	ds_read_b32 v77, v40
	ds_read_b32 v78, v34
	;; [unrolled: 1-line block ×3, first 2 shown]
	v_and_b32_e32 v23, 7, v56
	v_lshl_add_u32 v29, v29, 2, v48
	v_lshl_add_u32 v31, v31, 2, v48
	;; [unrolled: 1-line block ×4, first 2 shown]
	v_lshlrev_b32_e32 v41, 3, v23
	v_lshl_add_u32 v39, v39, 2, v48
	s_waitcnt vmcnt(0) lgkmcnt(0)
	s_barrier
	buffer_gl0_inv
	v_mul_f32_e32 v88, v21, v18
	v_mul_f32_e32 v80, v19, v18
	;; [unrolled: 1-line block ×6, first 2 shown]
	v_fma_f32 v11, v11, v17, -v88
	v_mul_f32_e32 v88, v76, v18
	v_mul_f32_e32 v89, v22, v18
	;; [unrolled: 1-line block ×6, first 2 shown]
	v_fma_f32 v9, v9, v17, -v80
	v_fma_f32 v10, v10, v17, -v81
	v_mul_f32_e32 v80, v62, v18
	v_mul_f32_e32 v81, v63, v18
	;; [unrolled: 1-line block ×3, first 2 shown]
	v_fmac_f32_e32 v86, v19, v17
	v_fmac_f32_e32 v87, v20, v17
	v_mul_f32_e32 v19, v15, v18
	v_mul_f32_e32 v20, v16, v18
	;; [unrolled: 1-line block ×3, first 2 shown]
	v_fmac_f32_e32 v90, v21, v17
	v_fma_f32 v21, v85, v17, -v88
	v_fma_f32 v12, v12, v17, -v89
	v_fmac_f32_e32 v91, v22, v17
	v_fma_f32 v13, v13, v17, -v92
	v_fma_f32 v14, v14, v17, -v93
	;; [unrolled: 3-line block ×3, first 2 shown]
	v_fmac_f32_e32 v95, v61, v17
	v_fmac_f32_e32 v19, v62, v17
	;; [unrolled: 1-line block ×4, first 2 shown]
	v_sub_f32_e32 v9, v70, v9
	v_sub_f32_e32 v17, v82, v21
	;; [unrolled: 1-line block ×18, first 2 shown]
	v_fma_f32 v70, v70, 2.0, -v9
	v_fma_f32 v77, v77, 2.0, -v21
	;; [unrolled: 1-line block ×18, first 2 shown]
	ds_write2_b32 v43, v70, v9 offset1:4
	ds_write2_b32 v49, v76, v10 offset1:4
	;; [unrolled: 1-line block ×9, first 2 shown]
	s_waitcnt lgkmcnt(0)
	s_barrier
	buffer_gl0_inv
	ds_read_b32 v70, v40
	ds_read_b32 v71, v38
	;; [unrolled: 1-line block ×9, first 2 shown]
	ds_read_b32 v82, v55 offset:7616
	ds_read2_b32 v[9:10], v47 offset0:112 offset1:224
	ds_read2_b32 v[11:12], v42 offset0:80 offset1:192
	;; [unrolled: 1-line block ×4, first 2 shown]
	s_waitcnt lgkmcnt(0)
	s_barrier
	buffer_gl0_inv
	ds_write2_b32 v43, v77, v21 offset1:4
	ds_write2_b32 v49, v69, v22 offset1:4
	;; [unrolled: 1-line block ×9, first 2 shown]
	s_waitcnt lgkmcnt(0)
	s_barrier
	buffer_gl0_inv
	global_load_dwordx2 v[17:18], v41, s[8:9] offset:48
	v_and_or_b32 v19, 0xf0, v0, v23
	v_and_or_b32 v20, 0x1f0, v1, v23
	v_and_or_b32 v21, 0x3f0, v2, v23
	v_and_or_b32 v22, 0x3f0, v3, v23
	v_and_b32_e32 v29, 15, v56
	v_lshl_add_u32 v43, v19, 2, v48
	v_lshl_add_u32 v49, v20, 2, v48
	ds_read2_b32 v[19:20], v47 offset0:112 offset1:224
	v_lshl_add_u32 v51, v21, 2, v48
	v_lshl_add_u32 v53, v22, 2, v48
	ds_read2_b32 v[21:22], v42 offset0:80 offset1:192
	ds_read2_b32 v[60:61], v50 offset0:48 offset1:160
	;; [unrolled: 1-line block ×3, first 2 shown]
	ds_read_b32 v64, v38
	ds_read_b32 v65, v28
	;; [unrolled: 1-line block ×6, first 2 shown]
	ds_read_b32 v77, v55 offset:7616
	ds_read_b32 v78, v40
	ds_read_b32 v79, v34
	ds_read_b32 v83, v36
	v_and_or_b32 v31, 0x7f0, v4, v23
	v_and_or_b32 v35, 0x5f0, v5, v23
	;; [unrolled: 1-line block ×5, first 2 shown]
	v_lshlrev_b32_e32 v41, 3, v29
	v_lshl_add_u32 v31, v31, 2, v48
	v_lshl_add_u32 v35, v35, 2, v48
	;; [unrolled: 1-line block ×5, first 2 shown]
	s_waitcnt vmcnt(0) lgkmcnt(0)
	s_barrier
	buffer_gl0_inv
	v_and_or_b32 v0, 0xe0, v0, v29
	v_and_or_b32 v1, 0x1e0, v1, v29
	;; [unrolled: 1-line block ×9, first 2 shown]
	v_lshl_add_u32 v8, v8, 2, v48
	v_mul_f32_e32 v88, v21, v18
	v_mul_f32_e32 v84, v19, v18
	;; [unrolled: 1-line block ×6, first 2 shown]
	v_fma_f32 v11, v11, v17, -v88
	v_mul_f32_e32 v88, v77, v18
	v_mul_f32_e32 v89, v22, v18
	;; [unrolled: 1-line block ×6, first 2 shown]
	v_fma_f32 v9, v9, v17, -v84
	v_fma_f32 v10, v10, v17, -v85
	v_mul_f32_e32 v84, v62, v18
	v_mul_f32_e32 v85, v63, v18
	;; [unrolled: 1-line block ×3, first 2 shown]
	v_fmac_f32_e32 v86, v19, v17
	v_fmac_f32_e32 v87, v20, v17
	v_mul_f32_e32 v19, v15, v18
	v_mul_f32_e32 v20, v16, v18
	;; [unrolled: 1-line block ×3, first 2 shown]
	v_fmac_f32_e32 v90, v21, v17
	v_fma_f32 v21, v82, v17, -v88
	v_fma_f32 v12, v12, v17, -v89
	v_fmac_f32_e32 v91, v22, v17
	v_fma_f32 v13, v13, v17, -v92
	v_fma_f32 v14, v14, v17, -v93
	;; [unrolled: 3-line block ×3, first 2 shown]
	v_fmac_f32_e32 v95, v61, v17
	v_fmac_f32_e32 v19, v62, v17
	;; [unrolled: 1-line block ×4, first 2 shown]
	v_sub_f32_e32 v9, v70, v9
	v_sub_f32_e32 v17, v76, v21
	v_sub_f32_e32 v21, v78, v86
	v_sub_f32_e32 v10, v81, v10
	v_sub_f32_e32 v22, v69, v87
	v_sub_f32_e32 v11, v80, v11
	v_sub_f32_e32 v60, v68, v90
	v_sub_f32_e32 v12, v71, v12
	v_sub_f32_e32 v61, v64, v91
	v_sub_f32_e32 v13, v72, v13
	v_sub_f32_e32 v14, v73, v14
	v_sub_f32_e32 v15, v74, v15
	v_sub_f32_e32 v16, v75, v16
	v_sub_f32_e32 v62, v65, v94
	v_sub_f32_e32 v63, v66, v95
	v_sub_f32_e32 v19, v67, v19
	v_sub_f32_e32 v20, v79, v20
	v_sub_f32_e32 v18, v83, v18
	v_fma_f32 v70, v70, 2.0, -v9
	v_fma_f32 v78, v78, 2.0, -v21
	;; [unrolled: 1-line block ×18, first 2 shown]
	ds_write2_b32 v43, v70, v9 offset1:8
	ds_write2_b32 v49, v77, v10 offset1:8
	;; [unrolled: 1-line block ×9, first 2 shown]
	s_waitcnt lgkmcnt(0)
	s_barrier
	buffer_gl0_inv
	ds_read_b32 v70, v40
	ds_read_b32 v71, v38
	;; [unrolled: 1-line block ×9, first 2 shown]
	ds_read_b32 v82, v55 offset:7616
	ds_read2_b32 v[9:10], v47 offset0:112 offset1:224
	ds_read2_b32 v[11:12], v42 offset0:80 offset1:192
	;; [unrolled: 1-line block ×4, first 2 shown]
	s_waitcnt lgkmcnt(0)
	s_barrier
	buffer_gl0_inv
	ds_write2_b32 v43, v78, v21 offset1:8
	ds_write2_b32 v49, v69, v22 offset1:8
	;; [unrolled: 1-line block ×9, first 2 shown]
	s_waitcnt lgkmcnt(0)
	s_barrier
	buffer_gl0_inv
	global_load_dwordx2 v[17:18], v41, s[8:9] offset:112
	v_lshl_add_u32 v63, v0, 2, v48
	v_lshl_add_u32 v64, v1, 2, v48
	ds_read2_b32 v[0:1], v47 offset0:112 offset1:224
	v_lshl_add_u32 v65, v2, 2, v48
	v_lshl_add_u32 v66, v3, 2, v48
	;; [unrolled: 1-line block ×6, first 2 shown]
	ds_read2_b32 v[2:3], v42 offset0:80 offset1:192
	ds_read2_b32 v[4:5], v50 offset0:48 offset1:160
	;; [unrolled: 1-line block ×3, first 2 shown]
	ds_read_b32 v19, v38
	ds_read_b32 v20, v28
	;; [unrolled: 1-line block ×6, first 2 shown]
	ds_read_b32 v31, v55 offset:7616
	ds_read_b32 v35, v40
	ds_read_b32 v37, v34
	;; [unrolled: 1-line block ×3, first 2 shown]
	v_and_b32_e32 v41, 31, v54
	v_and_b32_e32 v49, 31, v45
	s_waitcnt vmcnt(0) lgkmcnt(0)
	s_barrier
	buffer_gl0_inv
	v_lshlrev_b32_e32 v62, 4, v41
	v_mul_f32_e32 v43, v0, v18
	v_mul_f32_e32 v51, v1, v18
	;; [unrolled: 1-line block ×18, first 2 shown]
	v_fma_f32 v9, v9, v17, -v43
	v_fma_f32 v10, v10, v17, -v51
	v_fmac_f32_e32 v53, v0, v17
	v_fmac_f32_e32 v60, v1, v17
	v_fma_f32 v1, v12, v17, -v79
	v_fma_f32 v0, v11, v17, -v61
	v_fmac_f32_e32 v81, v2, v17
	v_fma_f32 v2, v13, v17, -v84
	v_fmac_f32_e32 v83, v3, v17
	;; [unrolled: 2-line block ×3, first 2 shown]
	v_fmac_f32_e32 v87, v5, v17
	v_fma_f32 v4, v15, v17, -v88
	v_fma_f32 v5, v16, v17, -v89
	v_fmac_f32_e32 v90, v6, v17
	v_fma_f32 v6, v82, v17, -v92
	v_fmac_f32_e32 v91, v7, v17
	v_fmac_f32_e32 v18, v31, v17
	v_sub_f32_e32 v7, v70, v9
	v_sub_f32_e32 v9, v80, v10
	;; [unrolled: 1-line block ×18, first 2 shown]
	v_fma_f32 v16, v70, 2.0, -v7
	v_fma_f32 v70, v35, 2.0, -v10
	;; [unrolled: 1-line block ×18, first 2 shown]
	ds_write2_b32 v63, v16, v7 offset1:16
	ds_write2_b32 v64, v17, v9 offset1:16
	;; [unrolled: 1-line block ×9, first 2 shown]
	s_waitcnt lgkmcnt(0)
	s_barrier
	buffer_gl0_inv
	ds_read_b32 v37, v40
	ds_read2_b32 v[16:17], v42 offset0:80 offset1:192
	ds_read_b32 v61, v34
	ds_read_b32 v51, v36
	;; [unrolled: 1-line block ×8, first 2 shown]
	ds_read_b32 v53, v55 offset:7616
	ds_read2_b32 v[22:23], v50 offset0:48 offset1:160
	ds_read2_b32 v[20:21], v47 offset0:112 offset1:224
	;; [unrolled: 1-line block ×3, first 2 shown]
	s_waitcnt lgkmcnt(0)
	s_barrier
	buffer_gl0_inv
	ds_write2_b32 v63, v70, v10 offset1:16
	ds_write2_b32 v64, v71, v11 offset1:16
	ds_write2_b32 v65, v72, v12 offset1:16
	ds_write2_b32 v66, v73, v13 offset1:16
	ds_write2_b32 v67, v74, v14 offset1:16
	ds_write2_b32 v68, v75, v15 offset1:16
	ds_write2_b32 v69, v76, v79 offset1:16
	ds_write2_b32 v78, v77, v81 offset1:16
	ds_write2_b32 v8, v80, v82 offset1:16
	s_waitcnt lgkmcnt(0)
	s_barrier
	buffer_gl0_inv
	global_load_dwordx4 v[4:7], v62, s[8:9] offset:240
	v_lshlrev_b32_e32 v0, 4, v49
	v_and_b32_e32 v62, 31, v56
	v_and_b32_e32 v63, 31, v44
	v_mov_b32_e32 v71, 0xaaab
	v_lshrrev_b32_e32 v65, 5, v54
	global_load_dwordx4 v[0:3], v0, s[8:9] offset:240
	v_lshlrev_b32_e32 v8, 4, v62
	v_lshrrev_b32_e32 v66, 5, v57
	v_lshrrev_b32_e32 v67, 5, v45
	v_lshrrev_b32_e32 v68, 5, v46
	v_lshrrev_b32_e32 v70, 5, v44
	global_load_dwordx4 v[12:15], v8, s[8:9] offset:240
	v_lshlrev_b32_e32 v8, 4, v63
	v_lshrrev_b32_e32 v64, 5, v56
	v_and_b32_e32 v72, 0xff, v54
	v_mul_u32_u24_sdwa v74, v45, v71 dst_sel:DWORD dst_unused:UNUSED_PAD src0_sel:WORD_0 src1_sel:DWORD
	v_mul_u32_u24_sdwa v75, v46, v71 dst_sel:DWORD dst_unused:UNUSED_PAD src0_sel:WORD_0 src1_sel:DWORD
	global_load_dwordx4 v[8:11], v8, s[8:9] offset:240
	v_mul_lo_u32 v65, 0x60, v65
	v_mul_lo_u32 v66, 0x60, v66
	;; [unrolled: 1-line block ×5, first 2 shown]
	v_mul_u32_u24_e32 v64, 0x60, v64
	v_mul_u32_u24_sdwa v76, v44, v71 dst_sel:DWORD dst_unused:UNUSED_PAD src0_sel:WORD_0 src1_sel:DWORD
	v_mul_lo_u16 v72, 0xab, v72
	v_mul_u32_u24_sdwa v71, v57, v71 dst_sel:DWORD dst_unused:UNUSED_PAD src0_sel:WORD_0 src1_sel:DWORD
	v_lshrrev_b32_e32 v91, 22, v74
	v_lshrrev_b32_e32 v92, 22, v75
	v_or_b32_e32 v64, v64, v62
	v_lshrrev_b16 v93, 14, v72
	v_lshrrev_b32_e32 v94, 22, v71
	v_or_b32_e32 v41, v65, v41
	v_or_b32_e32 v65, v66, v62
	;; [unrolled: 1-line block ×5, first 2 shown]
	v_mul_lo_u16 v70, 0x60, v91
	ds_read_b32 v71, v34
	v_mul_lo_u16 v72, 0x60, v92
	ds_read2_b32 v[62:63], v50 offset0:48 offset1:160
	v_lshl_add_u32 v68, v64, 2, v48
	v_lshl_add_u32 v75, v65, 2, v48
	ds_read2_b32 v[64:65], v47 offset0:112 offset1:224
	v_sub_nc_u16 v95, v45, v70
	v_sub_nc_u16 v96, v46, v72
	ds_read2_b32 v[45:46], v52 offset0:16 offset1:128
	v_add_nc_u32_e32 v73, 0xffffffa0, v56
	v_lshl_add_u32 v41, v41, 2, v48
	v_lshl_add_u32 v77, v49, 2, v48
	;; [unrolled: 1-line block ×4, first 2 shown]
	v_cndmask_b32_e64 v90, v73, v56, s0
	v_mul_lo_u16 v73, 0x60, v93
	v_mov_b32_e32 v69, 0
	v_mov_b32_e32 v80, 4
	v_mul_lo_u16 v74, 0x60, v94
	v_sub_nc_u16 v97, v54, v73
	ds_read_b32 v73, v36
	ds_read2_b32 v[48:49], v42 offset0:80 offset1:192
	ds_read_b32 v78, v38
	ds_read_b32 v81, v33
	;; [unrolled: 1-line block ×4, first 2 shown]
	v_lshlrev_b32_sdwa v70, v80, v95 dst_sel:DWORD dst_unused:UNUSED_PAD src0_sel:DWORD src1_sel:WORD_0
	v_lshlrev_b32_sdwa v72, v80, v96 dst_sel:DWORD dst_unused:UNUSED_PAD src0_sel:DWORD src1_sel:WORD_0
	s_waitcnt vmcnt(3) lgkmcnt(9)
	v_mul_f32_e32 v79, v71, v5
	v_mul_f32_e32 v5, v61, v5
	s_waitcnt lgkmcnt(8)
	v_mul_f32_e32 v84, v62, v7
	v_mul_f32_e32 v7, v22, v7
	v_fma_f32 v61, v61, v4, -v79
	s_waitcnt vmcnt(2) lgkmcnt(7)
	v_mul_f32_e32 v79, v64, v1
	v_fmac_f32_e32 v5, v71, v4
	v_mul_f32_e32 v1, v20, v1
	v_fma_f32 v4, v22, v6, -v84
	v_fmac_f32_e32 v7, v62, v6
	s_waitcnt lgkmcnt(6)
	v_mul_f32_e32 v6, v45, v3
	v_mul_f32_e32 v3, v18, v3
	ds_read_b32 v22, v58
	ds_read_b32 v62, v59
	v_fma_f32 v20, v20, v0, -v79
	v_fmac_f32_e32 v1, v64, v0
	v_fma_f32 v0, v18, v2, -v6
	v_fmac_f32_e32 v3, v45, v2
	ds_read_b32 v2, v55 offset:7616
	ds_read_b32 v6, v40
	s_waitcnt vmcnt(1)
	v_mul_f32_e32 v18, v63, v15
	v_mul_f32_e32 v45, v23, v15
	;; [unrolled: 1-line block ×5, first 2 shown]
	v_fma_f32 v18, v23, v14, -v18
	v_mul_f32_e32 v23, v65, v13
	v_fmac_f32_e32 v45, v63, v14
	v_mul_f32_e32 v63, v46, v15
	v_fmac_f32_e32 v64, v65, v12
	s_waitcnt lgkmcnt(9)
	v_mul_f32_e32 v65, v73, v13
	v_fma_f32 v21, v21, v12, -v23
	s_waitcnt lgkmcnt(6)
	v_mul_f32_e32 v23, v81, v13
	v_mul_f32_e32 v13, v51, v13
	v_fma_f32 v19, v19, v14, -v63
	v_mul_f32_e32 v63, v49, v15
	v_mul_f32_e32 v15, v17, v15
	v_fmac_f32_e32 v71, v46, v14
	s_waitcnt vmcnt(0)
	v_mul_f32_e32 v46, v48, v9
	v_mul_f32_e32 v9, v16, v9
	v_fma_f32 v23, v60, v12, -v23
	s_waitcnt lgkmcnt(1)
	v_mul_f32_e32 v60, v2, v11
	v_fmac_f32_e32 v79, v81, v12
	v_mul_f32_e32 v11, v53, v11
	v_fma_f32 v51, v51, v12, -v65
	v_fmac_f32_e32 v13, v73, v12
	v_fma_f32 v12, v17, v14, -v63
	v_fmac_f32_e32 v15, v49, v14
	;; [unrolled: 2-line block ×4, first 2 shown]
	v_add_f32_e32 v2, v23, v12
	v_add_f32_e32 v46, v43, v61
	;; [unrolled: 1-line block ×4, first 2 shown]
	v_sub_f32_e32 v16, v79, v15
	v_add_f32_e32 v17, v61, v4
	v_add_f32_e32 v53, v39, v51
	v_add_f32_e32 v63, v20, v0
	v_add_f32_e32 v65, v35, v20
	s_waitcnt lgkmcnt(0)
	v_add_f32_e32 v86, v6, v79
	v_add_f32_e32 v79, v79, v15
	v_fmac_f32_e32 v37, -0.5, v2
	v_add_f32_e32 v2, v14, v8
	v_sub_f32_e32 v61, v61, v4
	v_add_f32_e32 v4, v46, v4
	v_add_f32_e32 v46, v5, v7
	v_sub_f32_e32 v60, v13, v45
	v_add_f32_e32 v81, v21, v19
	v_fmac_f32_e32 v39, -0.5, v49
	v_add_f32_e32 v49, v22, v13
	v_add_f32_e32 v13, v13, v45
	v_sub_f32_e32 v48, v5, v7
	v_sub_f32_e32 v73, v1, v3
	;; [unrolled: 1-line block ×4, first 2 shown]
	v_add_f32_e32 v10, v10, v12
	v_add_f32_e32 v12, v31, v14
	v_fmac_f32_e32 v43, -0.5, v17
	v_sub_f32_e32 v17, v9, v11
	v_add_f32_e32 v5, v62, v5
	v_sub_f32_e32 v51, v51, v18
	v_sub_f32_e32 v20, v20, v0
	v_add_f32_e32 v18, v53, v18
	v_add_f32_e32 v53, v78, v1
	;; [unrolled: 1-line block ×3, first 2 shown]
	v_fmac_f32_e32 v35, -0.5, v63
	v_add_f32_e32 v63, v83, v64
	v_add_f32_e32 v64, v64, v71
	;; [unrolled: 1-line block ×5, first 2 shown]
	v_fmac_f32_e32 v31, -0.5, v2
	v_fmac_f32_e32 v6, -0.5, v79
	;; [unrolled: 1-line block ×3, first 2 shown]
	v_add_f32_e32 v84, v29, v21
	v_fmac_f32_e32 v29, -0.5, v81
	v_fmac_f32_e32 v22, -0.5, v13
	v_sub_f32_e32 v21, v21, v19
	v_sub_f32_e32 v14, v14, v8
	v_add_f32_e32 v15, v86, v15
	v_add_f32_e32 v5, v5, v7
	;; [unrolled: 1-line block ×3, first 2 shown]
	v_fmac_f32_e32 v78, -0.5, v1
	v_fmac_f32_e32 v83, -0.5, v64
	;; [unrolled: 1-line block ×3, first 2 shown]
	v_fmamk_f32 v9, v16, 0x3f5db3d7, v37
	v_fmamk_f32 v45, v17, 0x3f5db3d7, v31
	v_fmac_f32_e32 v31, 0xbf5db3d7, v17
	v_fmamk_f32 v17, v23, 0xbf5db3d7, v6
	v_fmac_f32_e32 v37, 0xbf5db3d7, v16
	v_fmac_f32_e32 v6, 0x3f5db3d7, v23
	v_add_f32_e32 v2, v12, v8
	v_add_f32_e32 v8, v65, v11
	v_fmamk_f32 v11, v48, 0x3f5db3d7, v43
	v_fmamk_f32 v23, v61, 0xbf5db3d7, v62
	v_fmac_f32_e32 v43, 0xbf5db3d7, v48
	v_fmac_f32_e32 v62, 0x3f5db3d7, v61
	v_fmamk_f32 v12, v60, 0x3f5db3d7, v39
	v_fmac_f32_e32 v39, 0xbf5db3d7, v60
	v_fmamk_f32 v16, v85, 0x3f5db3d7, v29
	;; [unrolled: 2-line block ×3, first 2 shown]
	s_barrier
	buffer_gl0_inv
	v_add_f32_e32 v19, v84, v19
	v_add_f32_e32 v3, v53, v3
	;; [unrolled: 1-line block ×3, first 2 shown]
	v_fmamk_f32 v13, v73, 0x3f5db3d7, v35
	v_fmac_f32_e32 v35, 0xbf5db3d7, v73
	v_fmac_f32_e32 v22, 0x3f5db3d7, v51
	v_fmamk_f32 v49, v20, 0xbf5db3d7, v78
	v_fmac_f32_e32 v78, 0x3f5db3d7, v20
	v_fmamk_f32 v20, v21, 0xbf5db3d7, v83
	v_fmac_f32_e32 v83, 0x3f5db3d7, v21
	v_fmamk_f32 v21, v14, 0xbf5db3d7, v82
	v_fmac_f32_e32 v82, 0x3f5db3d7, v14
	ds_write2_b32 v68, v10, v9 offset1:32
	ds_write_b32 v68, v37 offset:256
	ds_write2_b32 v41, v4, v11 offset1:32
	ds_write_b32 v41, v43 offset:256
	;; [unrolled: 2-line block ×6, first 2 shown]
	s_waitcnt lgkmcnt(0)
	s_barrier
	buffer_gl0_inv
	ds_read_b32 v29, v40
	ds_read_b32 v37, v34
	;; [unrolled: 1-line block ×9, first 2 shown]
	ds_read_b32 v102, v55 offset:7616
	ds_read2_b32 v[84:85], v42 offset0:80 offset1:192
	ds_read2_b32 v[86:87], v50 offset0:48 offset1:160
	;; [unrolled: 1-line block ×4, first 2 shown]
	s_waitcnt lgkmcnt(0)
	s_barrier
	buffer_gl0_inv
	ds_write2_b32 v68, v15, v17 offset1:32
	ds_write_b32 v68, v6 offset:256
	ds_write2_b32 v41, v5, v23 offset1:32
	ds_write_b32 v41, v62 offset:256
	;; [unrolled: 2-line block ×6, first 2 shown]
	v_lshlrev_b32_e32 v68, 1, v90
	v_lshlrev_b32_sdwa v2, v80, v97 dst_sel:DWORD dst_unused:UNUSED_PAD src0_sel:DWORD src1_sel:BYTE_0
	v_lshrrev_b32_e32 v3, 22, v76
	s_waitcnt lgkmcnt(0)
	s_barrier
	v_lshlrev_b64 v[0:1], 3, v[68:69]
	buffer_gl0_inv
	s_clause 0x1
	global_load_dwordx4 v[18:21], v70, s[8:9] offset:752
	global_load_dwordx4 v[64:67], v72, s[8:9] offset:752
	v_sub_nc_u16 v5, v57, v74
	v_mov_b32_e32 v7, 2
	v_add_co_u32 v0, s0, s8, v0
	v_add_co_ci_u32_e64 v1, s0, s9, v1, s0
	v_lshlrev_b32_sdwa v4, v80, v5 dst_sel:DWORD dst_unused:UNUSED_PAD src0_sel:DWORD src1_sel:WORD_0
	v_cmp_lt_u32_e64 s0, 0x5f, v56
	v_and_b32_e32 v8, 0xffff, v93
	s_clause 0x1
	global_load_dwordx4 v[76:79], v[0:1], off offset:752
	global_load_dwordx4 v[68:71], v2, s[8:9] offset:752
	v_mul_lo_u16 v2, 0x60, v3
	global_load_dwordx4 v[72:75], v4, s[8:9] offset:752
	ds_read2_b32 v[48:49], v47 offset0:112 offset1:224
	v_lshlrev_b32_e32 v1, 2, v90
	v_mad_u32_u24 v11, 0x480, v91, 0
	v_sub_nc_u16 v6, v44, v2
	ds_read2_b32 v[90:91], v52 offset0:16 offset1:128
	v_mad_u32_u24 v10, 0x480, v94, 0
	v_mad_u32_u24 v12, 0x480, v92, 0
	v_mad_u32_u24 v13, 0x480, v3, 0
	v_lshlrev_b32_sdwa v0, v80, v6 dst_sel:DWORD dst_unused:UNUSED_PAD src0_sel:DWORD src1_sel:WORD_0
	v_mad_u32_u24 v8, 0x480, v8, 0
	v_lshlrev_b32_sdwa v9, v7, v97 dst_sel:DWORD dst_unused:UNUSED_PAD src0_sel:DWORD src1_sel:BYTE_0
	v_lshlrev_b32_sdwa v5, v7, v5 dst_sel:DWORD dst_unused:UNUSED_PAD src0_sel:DWORD src1_sel:WORD_0
	v_lshlrev_b32_sdwa v14, v7, v95 dst_sel:DWORD dst_unused:UNUSED_PAD src0_sel:DWORD src1_sel:WORD_0
	global_load_dwordx4 v[80:83], v0, s[8:9] offset:752
	v_cndmask_b32_e64 v0, 0, 0x480, s0
	v_lshlrev_b32_sdwa v15, v7, v96 dst_sel:DWORD dst_unused:UNUSED_PAD src0_sel:DWORD src1_sel:WORD_0
	v_lshlrev_b32_sdwa v16, v7, v6 dst_sel:DWORD dst_unused:UNUSED_PAD src0_sel:DWORD src1_sel:WORD_0
	v_add3_u32 v9, v8, v9, v32
	v_add3_u32 v6, v10, v5, v32
	v_add_nc_u32_e32 v0, 0, v0
	v_add3_u32 v7, v11, v14, v32
	v_add3_u32 v8, v12, v15, v32
	;; [unrolled: 1-line block ×3, first 2 shown]
	v_add_nc_u32_e32 v2, 0x800, v55
	v_add3_u32 v0, v0, v1, v32
	ds_read2_b32 v[31:32], v50 offset0:48 offset1:160
	ds_read_b32 v41, v34
	ds_read_b32 v36, v36
	ds_read2_b32 v[34:35], v42 offset0:80 offset1:192
	ds_read_b32 v10, v38
	ds_read_b32 v33, v33
	;; [unrolled: 1-line block ×6, first 2 shown]
	ds_read_b32 v28, v55 offset:7616
	ds_read_b32 v13, v40
	v_add_nc_u32_e32 v1, 0x400, v55
	v_add_nc_u32_e32 v3, 0xc00, v55
	;; [unrolled: 1-line block ×3, first 2 shown]
	s_waitcnt vmcnt(0) lgkmcnt(0)
	s_barrier
	buffer_gl0_inv
	v_cmp_gt_u32_e64 s0, 64, v56
	v_mul_f32_e32 v16, v48, v19
	v_mul_f32_e32 v19, v45, v19
	;; [unrolled: 1-line block ×8, first 2 shown]
	v_fmac_f32_e32 v19, v48, v18
	v_fma_f32 v22, v45, v18, -v16
	v_fma_f32 v23, v88, v20, -v23
	v_mul_f32_e32 v67, v33, v77
	v_mul_f32_e32 v42, v31, v71
	;; [unrolled: 1-line block ×8, first 2 shown]
	v_fmac_f32_e32 v17, v90, v20
	v_fma_f32 v16, v46, v64, -v21
	v_mul_f32_e32 v69, v99, v77
	v_fmac_f32_e32 v15, v49, v64
	v_mul_f32_e32 v49, v85, v79
	v_fma_f32 v20, v89, v66, -v30
	v_fma_f32 v53, v86, v70, -v42
	v_fmac_f32_e32 v44, v31, v70
	v_fma_f32 v70, v99, v76, -v67
	v_mul_f32_e32 v64, v34, v81
	v_mul_f32_e32 v30, v28, v83
	;; [unrolled: 1-line block ×3, first 2 shown]
	v_fma_f32 v71, v85, v78, -v71
	v_mul_f32_e32 v43, v87, v75
	v_fma_f32 v51, v37, v68, -v38
	v_mul_f32_e32 v45, v39, v73
	v_fma_f32 v46, v87, v74, -v65
	v_fma_f32 v48, v39, v72, -v48
	v_mul_f32_e32 v21, v84, v81
	v_fmac_f32_e32 v47, v41, v68
	v_fmac_f32_e32 v69, v33, v76
	;; [unrolled: 1-line block ×3, first 2 shown]
	v_fma_f32 v41, v84, v80, -v64
	v_fma_f32 v42, v102, v82, -v30
	v_fmac_f32_e32 v18, v28, v82
	v_add_f32_e32 v28, v70, v71
	v_fmac_f32_e32 v43, v32, v74
	v_add_f32_e32 v32, v51, v53
	v_fmac_f32_e32 v14, v91, v66
	v_fmac_f32_e32 v45, v36, v72
	v_add_f32_e32 v35, v48, v46
	v_add_f32_e32 v36, v22, v23
	;; [unrolled: 1-line block ×3, first 2 shown]
	v_fmac_f32_e32 v21, v34, v80
	v_add_f32_e32 v30, v29, v70
	v_sub_f32_e32 v31, v69, v49
	v_add_f32_e32 v66, v41, v42
	v_fmac_f32_e32 v29, -0.5, v28
	v_add_f32_e32 v33, v101, v51
	v_sub_f32_e32 v34, v47, v44
	v_fmac_f32_e32 v101, -0.5, v32
	v_add_f32_e32 v37, v100, v48
	v_sub_f32_e32 v38, v45, v43
	v_add_f32_e32 v39, v98, v22
	v_sub_f32_e32 v65, v19, v17
	;; [unrolled: 2-line block ×3, first 2 shown]
	v_fmac_f32_e32 v100, -0.5, v35
	v_fmac_f32_e32 v98, -0.5, v36
	;; [unrolled: 1-line block ×3, first 2 shown]
	v_add_f32_e32 v68, v61, v41
	v_sub_f32_e32 v73, v21, v18
	v_add_f32_e32 v28, v30, v71
	v_fmac_f32_e32 v61, -0.5, v66
	v_fmamk_f32 v36, v31, 0x3f5db3d7, v29
	v_fmac_f32_e32 v29, 0xbf5db3d7, v31
	v_add_f32_e32 v30, v33, v53
	v_fmamk_f32 v31, v34, 0x3f5db3d7, v101
	v_fmac_f32_e32 v101, 0xbf5db3d7, v34
	v_add_f32_e32 v32, v37, v46
	v_add_f32_e32 v33, v39, v23
	;; [unrolled: 1-line block ×3, first 2 shown]
	v_fmamk_f32 v34, v38, 0x3f5db3d7, v100
	v_fmac_f32_e32 v100, 0xbf5db3d7, v38
	v_fmamk_f32 v37, v65, 0x3f5db3d7, v98
	v_fmamk_f32 v38, v72, 0x3f5db3d7, v60
	v_add_f32_e32 v64, v68, v42
	v_fmac_f32_e32 v98, 0xbf5db3d7, v65
	v_fmac_f32_e32 v60, 0xbf5db3d7, v72
	v_fmamk_f32 v65, v73, 0x3f5db3d7, v61
	v_fmac_f32_e32 v61, 0xbf5db3d7, v73
	ds_write2_b32 v0, v28, v36 offset1:96
	ds_write_b32 v0, v29 offset:768
	ds_write2_b32 v9, v30, v31 offset1:96
	ds_write_b32 v9, v101 offset:768
	ds_write2_b32 v6, v32, v34 offset1:96
	ds_write_b32 v6, v100 offset:768
	ds_write2_b32 v7, v33, v37 offset1:96
	ds_write_b32 v7, v98 offset:768
	ds_write2_b32 v8, v35, v38 offset1:96
	ds_write_b32 v8, v60 offset:768
	ds_write2_b32 v5, v64, v65 offset1:96
	ds_write_b32 v5, v61 offset:768
	s_waitcnt lgkmcnt(0)
	s_barrier
	buffer_gl0_inv
	ds_read2_b32 v[28:29], v1 offset0:32 offset1:144
	ds_read_b32 v74, v40
	ds_read_b32 v73, v59
	ds_read2_b32 v[30:31], v2 offset0:64 offset1:176
	ds_read2_b32 v[32:33], v3 offset0:96 offset1:208
	;; [unrolled: 1-line block ×5, first 2 shown]
                                        ; implicit-def: $vgpr67
                                        ; implicit-def: $vgpr68
                                        ; implicit-def: $vgpr66
	s_and_saveexec_b32 s1, s0
	s_cbranch_execz .LBB0_15
; %bb.14:
	ds_read_b32 v64, v55 offset:2048
	ds_read_b32 v65, v55 offset:3200
	ds_read_b32 v61, v55 offset:4352
	ds_read_b32 v67, v55 offset:5504
	ds_read_b32 v66, v55 offset:6656
	ds_read_b32 v60, v58
	ds_read_b32 v68, v55 offset:7808
.LBB0_15:
	s_or_b32 exec_lo, exec_lo, s1
	v_sub_f32_e32 v70, v70, v71
	v_add_f32_e32 v71, v47, v44
	v_add_f32_e32 v47, v12, v47
	v_sub_f32_e32 v51, v51, v53
	v_add_f32_e32 v72, v69, v49
	v_sub_f32_e32 v22, v22, v23
	v_fmac_f32_e32 v12, -0.5, v71
	v_add_f32_e32 v44, v47, v44
	v_add_f32_e32 v47, v45, v43
	;; [unrolled: 1-line block ×4, first 2 shown]
	v_fmamk_f32 v71, v51, 0xbf5db3d7, v12
	v_fmac_f32_e32 v12, 0x3f5db3d7, v51
	v_add_f32_e32 v51, v19, v17
	v_add_f32_e32 v19, v10, v19
	v_fmac_f32_e32 v13, -0.5, v72
	v_add_f32_e32 v43, v45, v43
	v_fmac_f32_e32 v11, -0.5, v47
	v_fmac_f32_e32 v10, -0.5, v51
	v_add_f32_e32 v17, v19, v17
	v_add_f32_e32 v19, v15, v14
	v_sub_f32_e32 v46, v48, v46
	v_add_f32_e32 v49, v69, v49
	v_fmamk_f32 v45, v22, 0xbf5db3d7, v10
	v_fmac_f32_e32 v10, 0x3f5db3d7, v22
	v_add_f32_e32 v22, v21, v18
	v_fmamk_f32 v53, v70, 0xbf5db3d7, v13
	v_add_f32_e32 v15, v62, v15
	v_fmac_f32_e32 v62, -0.5, v19
	v_sub_f32_e32 v16, v16, v20
	v_add_f32_e32 v19, v63, v21
	v_fmac_f32_e32 v63, -0.5, v22
	v_sub_f32_e32 v20, v41, v42
	v_fmac_f32_e32 v13, 0x3f5db3d7, v70
	v_fmamk_f32 v23, v46, 0xbf5db3d7, v11
	v_fmac_f32_e32 v11, 0x3f5db3d7, v46
	v_add_f32_e32 v14, v15, v14
	v_fmamk_f32 v15, v16, 0xbf5db3d7, v62
	v_fmac_f32_e32 v62, 0x3f5db3d7, v16
	v_add_f32_e32 v69, v19, v18
	v_fmamk_f32 v70, v20, 0xbf5db3d7, v63
	v_fmac_f32_e32 v63, 0x3f5db3d7, v20
	s_waitcnt lgkmcnt(0)
	s_barrier
	buffer_gl0_inv
	ds_write2_b32 v0, v49, v53 offset1:96
	ds_write_b32 v0, v13 offset:768
	ds_write2_b32 v9, v44, v71 offset1:96
	ds_write_b32 v9, v12 offset:768
	;; [unrolled: 2-line block ×6, first 2 shown]
	s_waitcnt lgkmcnt(0)
	s_barrier
	buffer_gl0_inv
	ds_read2_b32 v[42:43], v1 offset0:32 offset1:144
	ds_read2_b32 v[44:45], v2 offset0:64 offset1:176
	;; [unrolled: 1-line block ×6, first 2 shown]
	ds_read_b32 v76, v40
	ds_read_b32 v75, v59
                                        ; implicit-def: $vgpr59
                                        ; implicit-def: $vgpr72
                                        ; implicit-def: $vgpr71
	s_and_saveexec_b32 s1, s0
	s_cbranch_execz .LBB0_17
; %bb.16:
	ds_read_b32 v69, v55 offset:2048
	ds_read_b32 v70, v55 offset:3200
	;; [unrolled: 1-line block ×5, first 2 shown]
	ds_read_b32 v62, v58
	ds_read_b32 v72, v55 offset:7808
.LBB0_17:
	s_or_b32 exec_lo, exec_lo, s1
	s_and_saveexec_b32 s1, vcc_lo
	s_cbranch_execz .LBB0_20
; %bb.18:
	v_mul_u32_u24_e32 v0, 6, v56
	v_mul_i32_i24_e32 v40, 6, v54
	v_mov_b32_e32 v41, 0
	v_mul_hi_u32 v55, 0x38e38e39, v56
	v_add_nc_u32_e32 v58, 0x70, v56
	v_lshlrev_b32_e32 v0, 3, v0
	v_mul_lo_u32 v54, s4, v27
	v_mul_hi_u32 v77, 0x38e38e39, v58
	v_add_co_u32 v6, s1, s8, v0
	v_add_co_ci_u32_e64 v7, null, s9, 0, s1
	v_lshlrev_b64 v[0:1], 3, v[40:41]
	v_add_co_u32 v4, vcc_lo, 0x8f0, v6
	v_add_co_ci_u32_e32 v5, vcc_lo, 0, v7, vcc_lo
	v_mul_lo_u32 v40, s5, v26
	v_add_co_u32 v8, vcc_lo, s8, v0
	v_add_co_ci_u32_e32 v9, vcc_lo, s9, v1, vcc_lo
	v_add_co_u32 v6, vcc_lo, 0x800, v6
	v_add_co_ci_u32_e32 v7, vcc_lo, 0, v7, vcc_lo
	s_clause 0x1
	global_load_dwordx4 v[0:3], v[4:5], off offset:32
	global_load_dwordx4 v[20:23], v[4:5], off offset:16
	v_add_co_u32 v4, vcc_lo, 0x8f0, v8
	v_add_co_ci_u32_e32 v5, vcc_lo, 0, v9, vcc_lo
	s_clause 0x1
	global_load_dwordx4 v[16:19], v[6:7], off offset:240
	global_load_dwordx4 v[12:15], v[4:5], off offset:32
	;; [unrolled: 5-line block ×3, first 2 shown]
	v_mad_u64_u32 v[26:27], null, s4, v26, 0
	v_lshrrev_b32_e32 v55, 6, v55
	v_lshrrev_b32_e32 v78, 6, v77
	v_add3_u32 v27, v27, v54, v40
	v_mul_u32_u24_e32 v40, 0x120, v55
	v_lshlrev_b64 v[54:55], 3, v[24:25]
	v_lshlrev_b64 v[26:27], 3, v[26:27]
	v_sub_nc_u32_e32 v95, v56, v40
	v_mul_u32_u24_e32 v40, 0x120, v78
	v_add_co_u32 v26, vcc_lo, s14, v26
	v_add_co_ci_u32_e32 v27, vcc_lo, s15, v27, vcc_lo
	v_add_nc_u32_e32 v79, 0x120, v95
	v_add_nc_u32_e32 v80, 0x240, v95
	v_sub_nc_u32_e32 v40, v58, v40
	v_add_nc_u32_e32 v81, 0x360, v95
	v_add_nc_u32_e32 v82, 0x480, v95
	;; [unrolled: 1-line block ×3, first 2 shown]
	v_add_co_u32 v58, vcc_lo, v26, v54
	v_add_nc_u32_e32 v84, 0x6c0, v95
	v_mad_u64_u32 v[24:25], null, s2, v95, 0
	v_add_co_ci_u32_e32 v77, vcc_lo, v27, v55, vcc_lo
	v_mad_u32_u24 v40, 0x7e0, v78, v40
	v_mad_u64_u32 v[26:27], null, s2, v79, 0
	v_mad_u64_u32 v[54:55], null, s2, v80, 0
	v_mad_u64_u32 v[85:86], null, s2, v81, 0
	v_mad_u64_u32 v[87:88], null, s2, v82, 0
	v_mad_u64_u32 v[89:90], null, s2, v83, 0
	v_mad_u64_u32 v[91:92], null, s2, v84, 0
	v_add_nc_u32_e32 v104, 0x120, v40
	v_mad_u64_u32 v[95:96], null, s3, v95, v[25:26]
	v_mov_b32_e32 v25, v55
	v_mov_b32_e32 v55, v86
	;; [unrolled: 1-line block ×3, first 2 shown]
	v_mad_u64_u32 v[96:97], null, s2, v104, 0
	v_mov_b32_e32 v88, v90
	v_mov_b32_e32 v90, v92
	v_mad_u64_u32 v[102:103], null, s3, v79, v[27:28]
	v_mad_u64_u32 v[79:80], null, s3, v80, v[25:26]
	;; [unrolled: 1-line block ×6, first 2 shown]
	v_add_nc_u32_e32 v105, 0x240, v40
	v_mad_u64_u32 v[83:84], null, s3, v84, v[90:91]
	v_mov_b32_e32 v84, v97
	v_mov_b32_e32 v27, v94
	v_mad_u64_u32 v[98:99], null, s2, v105, 0
	v_mov_b32_e32 v55, v79
	v_mov_b32_e32 v86, v80
	v_mad_u64_u32 v[79:80], null, s3, v104, v[84:85]
	v_mov_b32_e32 v25, v95
	v_mad_u64_u32 v[94:95], null, s3, v40, v[27:28]
	v_mov_b32_e32 v95, v99
	v_mov_b32_e32 v88, v81
	;; [unrolled: 1-line block ×5, first 2 shown]
	v_mad_u64_u32 v[80:81], null, s3, v105, v[95:96]
	v_lshlrev_b64 v[81:82], 3, v[85:86]
	v_lshlrev_b64 v[83:84], 3, v[87:88]
	;; [unrolled: 1-line block ×6, first 2 shown]
	v_mov_b32_e32 v27, v102
	v_lshlrev_b64 v[24:25], 3, v[24:25]
	v_lshlrev_b64 v[54:55], 3, v[54:55]
	v_add_nc_u32_e32 v78, 0x360, v40
	v_add_nc_u32_e32 v106, 0x480, v40
	v_lshlrev_b64 v[26:27], 3, v[26:27]
	v_add_co_u32 v24, vcc_lo, v58, v24
	v_add_co_ci_u32_e32 v25, vcc_lo, v77, v25, vcc_lo
	v_add_co_u32 v26, vcc_lo, v58, v26
	v_add_co_ci_u32_e32 v27, vcc_lo, v77, v27, vcc_lo
	;; [unrolled: 2-line block ×7, first 2 shown]
	v_add_co_u32 v89, vcc_lo, v58, v89
	v_mad_u64_u32 v[100:101], null, s2, v78, 0
	v_add_co_ci_u32_e32 v90, vcc_lo, v77, v90, vcc_lo
	s_waitcnt vmcnt(5) lgkmcnt(2)
	v_mul_f32_e32 v79, v52, v3
	v_mul_f32_e32 v93, v50, v1
	v_mul_f32_e32 v3, v38, v3
	v_mul_f32_e32 v1, v36, v1
	s_waitcnt vmcnt(4)
	v_mul_f32_e32 v94, v48, v23
	v_mul_f32_e32 v95, v46, v21
	v_mul_f32_e32 v21, v32, v21
	v_mul_f32_e32 v23, v34, v23
	s_waitcnt vmcnt(3)
	v_mul_f32_e32 v96, v42, v17
	v_mul_f32_e32 v97, v44, v19
	v_mul_f32_e32 v17, v28, v17
	v_mul_f32_e32 v19, v30, v19
	s_waitcnt vmcnt(2)
	v_mul_f32_e32 v99, v53, v15
	v_mul_f32_e32 v102, v51, v13
	v_mul_f32_e32 v15, v39, v15
	v_mul_f32_e32 v13, v37, v13
	s_waitcnt vmcnt(1)
	v_mul_f32_e32 v103, v49, v11
	v_mul_f32_e32 v104, v47, v9
	v_mul_f32_e32 v9, v33, v9
	v_mul_f32_e32 v11, v35, v11
	s_waitcnt vmcnt(0)
	v_mul_f32_e32 v105, v43, v5
	v_mul_f32_e32 v107, v45, v7
	;; [unrolled: 1-line block ×4, first 2 shown]
	v_fma_f32 v38, v38, v2, -v79
	v_fma_f32 v36, v36, v0, -v93
	v_fmac_f32_e32 v3, v52, v2
	v_fmac_f32_e32 v1, v50, v0
	v_fma_f32 v0, v34, v22, -v94
	v_fma_f32 v2, v32, v20, -v95
	v_fmac_f32_e32 v21, v46, v20
	v_fmac_f32_e32 v23, v48, v22
	;; [unrolled: 4-line block ×6, first 2 shown]
	v_sub_f32_e32 v4, v20, v38
	v_sub_f32_e32 v6, v22, v36
	v_add_f32_e32 v28, v17, v3
	v_add_f32_e32 v29, v19, v1
	;; [unrolled: 1-line block ×4, first 2 shown]
	v_sub_f32_e32 v3, v17, v3
	v_sub_f32_e32 v1, v19, v1
	v_sub_f32_e32 v17, v0, v2
	v_add_f32_e32 v19, v23, v21
	v_add_f32_e32 v0, v0, v2
	v_sub_f32_e32 v2, v23, v21
	v_sub_f32_e32 v21, v8, v16
	;; [unrolled: 1-line block ×4, first 2 shown]
	v_add_f32_e32 v31, v5, v15
	v_add_f32_e32 v32, v11, v9
	;; [unrolled: 1-line block ×6, first 2 shown]
	v_sub_f32_e32 v5, v5, v15
	v_sub_f32_e32 v9, v11, v9
	;; [unrolled: 1-line block ×3, first 2 shown]
	v_add_f32_e32 v11, v28, v29
	v_add_f32_e32 v13, v20, v22
	v_sub_f32_e32 v14, v6, v4
	v_sub_f32_e32 v15, v29, v28
	;; [unrolled: 1-line block ×6, first 2 shown]
	v_add_f32_e32 v6, v17, v6
	v_sub_f32_e32 v17, v28, v19
	v_sub_f32_e32 v28, v19, v29
	;; [unrolled: 1-line block ×6, first 2 shown]
	v_add_f32_e32 v1, v2, v1
	v_sub_f32_e32 v37, v21, v23
	v_sub_f32_e32 v2, v23, v30
	v_add_f32_e32 v23, v23, v30
	v_sub_f32_e32 v38, v31, v32
	v_add_f32_e32 v39, v31, v33
	v_sub_f32_e32 v31, v33, v31
	v_sub_f32_e32 v33, v32, v33
	;; [unrolled: 1-line block ×3, first 2 shown]
	v_add_f32_e32 v43, v8, v10
	v_sub_f32_e32 v8, v10, v8
	v_sub_f32_e32 v10, v12, v10
	;; [unrolled: 1-line block ×5, first 2 shown]
	v_add_f32_e32 v9, v9, v7
	v_sub_f32_e32 v7, v7, v5
	v_add_f32_e32 v11, v19, v11
	v_add_f32_e32 v13, v0, v13
	;; [unrolled: 1-line block ×4, first 2 shown]
	v_mul_f32_e32 v3, 0x3f5ff5aa, v14
	v_mul_f32_e32 v19, 0x3f4a47b2, v17
	;; [unrolled: 1-line block ×8, first 2 shown]
	v_add_f32_e32 v21, v21, v23
	v_add_f32_e32 v23, v32, v39
	;; [unrolled: 1-line block ×4, first 2 shown]
	v_mul_f32_e32 v9, 0xbf08b237, v2
	v_mul_f32_e32 v32, 0x3f4a47b2, v38
	;; [unrolled: 1-line block ×8, first 2 shown]
	s_waitcnt lgkmcnt(1)
	v_add_f32_e32 v1, v76, v11
	v_add_f32_e32 v0, v74, v13
	v_fmamk_f32 v17, v17, 0x3f4a47b2, v28
	v_fma_f32 v19, 0xbf3bfb3b, v15, -v19
	v_fma_f32 v15, 0x3f3bfb3b, v15, -v28
	;; [unrolled: 1-line block ×3, first 2 shown]
	v_fmamk_f32 v34, v34, 0x3eae86e6, v35
	v_fma_f32 v14, 0x3f5ff5aa, v14, -v35
	v_fma_f32 v35, 0xbeae86e6, v29, -v46
	v_fmamk_f32 v29, v29, 0x3eae86e6, v36
	v_fma_f32 v18, 0x3f5ff5aa, v18, -v36
	v_fmamk_f32 v20, v20, 0x3f4a47b2, v22
	v_fma_f32 v36, 0xbf3bfb3b, v16, -v47
	v_fma_f32 v16, 0x3f3bfb3b, v16, -v22
	v_add_f32_e32 v2, v73, v12
	v_fmamk_f32 v22, v38, 0x3f4a47b2, v33
	v_fma_f32 v32, 0xbf3bfb3b, v31, -v32
	v_fma_f32 v31, 0x3f3bfb3b, v31, -v33
	;; [unrolled: 1-line block ×3, first 2 shown]
	v_fmamk_f32 v37, v37, 0x3eae86e6, v9
	v_fma_f32 v38, 0xbeae86e6, v44, -v48
	v_fmamk_f32 v43, v44, 0x3eae86e6, v45
	v_fma_f32 v30, 0x3f5ff5aa, v30, -v9
	v_fma_f32 v44, 0x3f5ff5aa, v7, -v45
	v_fmamk_f32 v7, v42, 0x3f4a47b2, v10
	v_fma_f32 v9, 0xbf3bfb3b, v8, -v39
	v_fma_f32 v8, 0x3f3bfb3b, v8, -v10
	v_fmamk_f32 v10, v11, 0xbf955555, v1
	v_fmamk_f32 v11, v13, 0xbf955555, v0
	s_waitcnt lgkmcnt(0)
	v_add_f32_e32 v3, v75, v23
	v_fmac_f32_e32 v28, 0x3ee1c552, v4
	global_store_dwordx2 v[24:25], v[0:1], off
	v_fmac_f32_e32 v34, 0x3ee1c552, v4
	v_fmac_f32_e32 v29, 0x3ee1c552, v6
	;; [unrolled: 1-line block ×3, first 2 shown]
	v_fmamk_f32 v1, v12, 0xbf955555, v2
	v_add_f32_e32 v12, v17, v10
	v_add_f32_e32 v17, v20, v11
	v_add_f32_e32 v13, v19, v10
	v_add_f32_e32 v19, v36, v11
	v_add_f32_e32 v11, v16, v11
	v_fmac_f32_e32 v35, 0x3ee1c552, v6
	v_fmac_f32_e32 v14, 0x3ee1c552, v4
	v_add_f32_e32 v10, v15, v10
	v_fmamk_f32 v0, v23, 0xbf955555, v3
	v_fmac_f32_e32 v43, 0x3ee1c552, v5
	v_fmac_f32_e32 v38, 0x3ee1c552, v5
	;; [unrolled: 1-line block ×3, first 2 shown]
	v_add_f32_e32 v36, v7, v1
	v_add_f32_e32 v25, v9, v1
	v_add_f32_e32 v23, v8, v1
	v_add_f32_e32 v1, v34, v12
	v_add_f32_e32 v5, v28, v13
	v_add_f32_e32 v6, v18, v11
	v_sub_f32_e32 v8, v11, v18
	v_sub_f32_e32 v11, v13, v28
	v_sub_f32_e32 v13, v12, v34
	v_add_f32_e32 v12, v29, v17
	v_sub_f32_e32 v7, v10, v14
	v_add_f32_e32 v9, v14, v10
	v_add_f32_e32 v10, v35, v19
	v_fmac_f32_e32 v37, 0x3ee1c552, v21
	v_fmac_f32_e32 v33, 0x3ee1c552, v21
	;; [unrolled: 1-line block ×3, first 2 shown]
	v_add_f32_e32 v24, v22, v0
	v_add_f32_e32 v22, v32, v0
	;; [unrolled: 1-line block ×3, first 2 shown]
	v_sub_f32_e32 v4, v19, v35
	v_sub_f32_e32 v0, v17, v29
	global_store_dwordx2 v[26:27], v[12:13], off
	global_store_dwordx2 v[54:55], v[10:11], off
	;; [unrolled: 1-line block ×7, first 2 shown]
	v_mad_u64_u32 v[2:3], null, s2, v106, 0
	v_add_co_u32 v0, vcc_lo, v58, v91
	v_add_f32_e32 v15, v37, v24
	v_add_f32_e32 v17, v33, v22
	v_sub_f32_e32 v16, v25, v38
	v_sub_f32_e32 v19, v20, v30
	v_add_f32_e32 v18, v44, v23
	v_add_f32_e32 v21, v30, v20
	v_sub_f32_e32 v20, v23, v44
	v_sub_f32_e32 v23, v22, v33
	v_add_f32_e32 v22, v38, v25
	v_sub_f32_e32 v25, v24, v37
	v_add_f32_e32 v24, v43, v36
	v_add_co_ci_u32_e32 v1, vcc_lo, v77, v92, vcc_lo
	v_add_nc_u32_e32 v11, 0x5a0, v40
	v_mov_b32_e32 v99, v80
	v_add_nc_u32_e32 v12, 0x6c0, v40
	global_store_dwordx2 v[0:1], v[24:25], off
	v_mov_b32_e32 v0, v101
	v_mov_b32_e32 v1, v3
	v_mad_u64_u32 v[4:5], null, s2, v11, 0
	v_lshlrev_b64 v[6:7], 3, v[98:99]
	v_sub_f32_e32 v14, v36, v43
	v_mad_u64_u32 v[8:9], null, s3, v78, v[0:1]
	v_mad_u64_u32 v[9:10], null, s2, v12, 0
	;; [unrolled: 1-line block ×3, first 2 shown]
	v_mov_b32_e32 v1, v5
	v_add_co_u32 v5, vcc_lo, v58, v6
	v_add_co_ci_u32_e32 v6, vcc_lo, v77, v7, vcc_lo
	v_mov_b32_e32 v101, v8
	v_mad_u64_u32 v[7:8], null, s3, v11, v[1:2]
	v_mov_b32_e32 v1, v10
	v_mov_b32_e32 v3, v0
	v_lshlrev_b64 v[10:11], 3, v[100:101]
	global_store_dwordx2 v[5:6], v[22:23], off
	v_mad_u64_u32 v[0:1], null, s3, v12, v[1:2]
	v_mov_b32_e32 v5, v7
	v_lshlrev_b64 v[1:2], 3, v[2:3]
	v_add_co_u32 v6, vcc_lo, v58, v10
	v_add_co_ci_u32_e32 v7, vcc_lo, v77, v11, vcc_lo
	v_mov_b32_e32 v10, v0
	v_lshlrev_b64 v[3:4], 3, v[4:5]
	v_add_co_u32 v1, vcc_lo, v58, v1
	v_add_co_ci_u32_e32 v2, vcc_lo, v77, v2, vcc_lo
	v_lshlrev_b64 v[8:9], 3, v[9:10]
	v_add_co_u32 v3, vcc_lo, v58, v3
	v_add_nc_u32_e32 v0, 0xe0, v56
	v_add_co_ci_u32_e32 v4, vcc_lo, v77, v4, vcc_lo
	v_add_co_u32 v8, vcc_lo, v58, v8
	v_add_co_ci_u32_e32 v9, vcc_lo, v77, v9, vcc_lo
	v_cmp_gt_u32_e32 vcc_lo, 0x120, v0
	global_store_dwordx2 v[6:7], v[20:21], off
	global_store_dwordx2 v[1:2], v[18:19], off
	;; [unrolled: 1-line block ×4, first 2 shown]
	s_and_b32 exec_lo, exec_lo, vcc_lo
	s_cbranch_execz .LBB0_20
; %bb.19:
	v_subrev_nc_u32_e32 v1, 64, v56
	v_add_nc_u32_e32 v29, 0x200, v56
	v_add_nc_u32_e32 v30, 0x320, v56
	;; [unrolled: 1-line block ×4, first 2 shown]
	v_cndmask_b32_e64 v1, v1, v57, s0
	v_mad_u64_u32 v[13:14], null, s2, v0, 0
	v_mad_u64_u32 v[15:16], null, s2, v29, 0
	v_mul_i32_i24_e32 v40, 6, v1
	v_mad_u64_u32 v[17:18], null, s2, v30, 0
	v_mad_u64_u32 v[19:20], null, s2, v31, 0
	v_lshlrev_b64 v[1:2], 3, v[40:41]
	v_mad_u64_u32 v[21:22], null, s2, v32, 0
	v_add_nc_u32_e32 v33, 0x680, v56
	v_add_nc_u32_e32 v34, 0x7a0, v56
	v_mad_u64_u32 v[27:28], null, s3, v0, v[14:15]
	v_add_co_u32 v3, vcc_lo, s8, v1
	v_add_co_ci_u32_e32 v4, vcc_lo, s9, v2, vcc_lo
	v_mov_b32_e32 v0, v16
	v_add_co_u32 v1, vcc_lo, 0x800, v3
	v_add_co_ci_u32_e32 v2, vcc_lo, 0, v4, vcc_lo
	v_add_co_u32 v9, vcc_lo, 0x8f0, v3
	v_add_co_ci_u32_e32 v10, vcc_lo, 0, v4, vcc_lo
	s_clause 0x2
	global_load_dwordx4 v[1:4], v[1:2], off offset:240
	global_load_dwordx4 v[5:8], v[9:10], off offset:16
	;; [unrolled: 1-line block ×3, first 2 shown]
	v_mov_b32_e32 v14, v18
	v_mad_u64_u32 v[23:24], null, s2, v33, 0
	v_mov_b32_e32 v16, v20
	v_mad_u64_u32 v[25:26], null, s2, v34, 0
	v_mov_b32_e32 v18, v22
	v_mov_b32_e32 v20, v24
	;; [unrolled: 1-line block ×3, first 2 shown]
	s_waitcnt vmcnt(2)
	v_mad_u64_u32 v[28:29], null, s3, v29, v[0:1]
	v_mad_u64_u32 v[29:30], null, s3, v30, v[14:15]
	;; [unrolled: 1-line block ×4, first 2 shown]
	v_mov_b32_e32 v14, v27
	v_mad_u64_u32 v[26:27], null, s3, v33, v[20:21]
	v_mad_u64_u32 v[32:33], null, s3, v34, v[22:23]
	v_mov_b32_e32 v16, v28
	v_mov_b32_e32 v18, v29
	;; [unrolled: 1-line block ×4, first 2 shown]
	v_mul_f32_e32 v0, v69, v2
	v_mul_f32_e32 v2, v64, v2
	;; [unrolled: 1-line block ×4, first 2 shown]
	s_waitcnt vmcnt(1)
	v_mul_f32_e32 v28, v63, v6
	v_mul_f32_e32 v6, v61, v6
	;; [unrolled: 1-line block ×4, first 2 shown]
	s_waitcnt vmcnt(0)
	v_mul_f32_e32 v30, v71, v10
	v_mul_f32_e32 v10, v66, v10
	v_mul_f32_e32 v31, v72, v12
	v_mul_f32_e32 v12, v68, v12
	v_fma_f32 v0, v64, v1, -v0
	v_fmac_f32_e32 v2, v69, v1
	v_fma_f32 v1, v65, v3, -v27
	v_fmac_f32_e32 v4, v70, v3
	;; [unrolled: 2-line block ×3, first 2 shown]
	v_fma_f32 v5, v67, v7, -v29
	v_fma_f32 v27, v68, v11, -v31
	v_fmac_f32_e32 v12, v72, v11
	v_fmac_f32_e32 v8, v59, v7
	v_fma_f32 v7, v66, v9, -v30
	v_fmac_f32_e32 v10, v71, v9
	v_add_f32_e32 v9, v0, v27
	v_add_f32_e32 v11, v2, v12
	v_sub_f32_e32 v0, v0, v27
	v_sub_f32_e32 v2, v2, v12
	v_add_f32_e32 v12, v1, v7
	v_add_f32_e32 v27, v4, v10
	v_sub_f32_e32 v1, v1, v7
	v_sub_f32_e32 v4, v4, v10
	;; [unrolled: 4-line block ×3, first 2 shown]
	v_add_f32_e32 v6, v12, v9
	v_add_f32_e32 v8, v27, v11
	v_lshlrev_b64 v[13:14], 3, v[13:14]
	v_mov_b32_e32 v24, v26
	v_mov_b32_e32 v26, v32
	v_sub_f32_e32 v28, v12, v9
	v_sub_f32_e32 v29, v27, v11
	;; [unrolled: 1-line block ×6, first 2 shown]
	v_add_f32_e32 v30, v3, v1
	v_add_f32_e32 v31, v5, v4
	v_sub_f32_e32 v32, v3, v1
	v_sub_f32_e32 v33, v5, v4
	;; [unrolled: 1-line block ×3, first 2 shown]
	v_add_f32_e32 v6, v7, v6
	v_add_f32_e32 v7, v10, v8
	v_sub_f32_e32 v4, v4, v2
	v_lshlrev_b64 v[15:16], 3, v[15:16]
	v_lshlrev_b64 v[17:18], 3, v[17:18]
	v_add_co_u32 v13, vcc_lo, v58, v13
	v_sub_f32_e32 v3, v0, v3
	v_sub_f32_e32 v5, v2, v5
	v_add_f32_e32 v8, v30, v0
	v_add_f32_e32 v2, v31, v2
	v_mul_f32_e32 v9, 0x3f4a47b2, v9
	v_mul_f32_e32 v10, 0x3f4a47b2, v11
	;; [unrolled: 1-line block ×7, first 2 shown]
	v_add_f32_e32 v0, v60, v6
	v_add_f32_e32 v1, v62, v7
	v_mul_f32_e32 v35, 0x3f5ff5aa, v4
	v_add_co_ci_u32_e32 v14, vcc_lo, v77, v14, vcc_lo
	v_lshlrev_b64 v[19:20], 3, v[19:20]
	v_add_co_u32 v15, vcc_lo, v58, v15
	v_add_co_ci_u32_e32 v16, vcc_lo, v77, v16, vcc_lo
	v_fmamk_f32 v12, v12, 0x3d64c772, v9
	v_fmamk_f32 v27, v27, 0x3d64c772, v10
	v_fma_f32 v11, 0x3f3bfb3b, v28, -v11
	v_fma_f32 v30, 0x3f3bfb3b, v29, -v30
	;; [unrolled: 1-line block ×4, first 2 shown]
	v_fmamk_f32 v28, v3, 0x3eae86e6, v31
	v_fmamk_f32 v29, v5, 0x3eae86e6, v32
	v_fma_f32 v32, 0x3f5ff5aa, v4, -v32
	v_fma_f32 v33, 0xbeae86e6, v3, -v33
	v_fmamk_f32 v3, v6, 0xbf955555, v0
	v_fmamk_f32 v4, v7, 0xbf955555, v1
	v_lshlrev_b64 v[21:22], 3, v[21:22]
	v_add_co_u32 v17, vcc_lo, v58, v17
	v_fma_f32 v31, 0x3f5ff5aa, v34, -v31
	v_fma_f32 v34, 0xbeae86e6, v5, -v35
	v_add_co_ci_u32_e32 v18, vcc_lo, v77, v18, vcc_lo
	v_lshlrev_b64 v[23:24], 3, v[23:24]
	v_add_co_u32 v19, vcc_lo, v58, v19
	v_fmac_f32_e32 v28, 0x3ee1c552, v8
	v_fmac_f32_e32 v29, 0x3ee1c552, v2
	global_store_dwordx2 v[13:14], v[0:1], off
	v_add_f32_e32 v12, v12, v3
	v_add_f32_e32 v13, v27, v4
	v_add_co_ci_u32_e32 v20, vcc_lo, v77, v20, vcc_lo
	v_fmac_f32_e32 v31, 0x3ee1c552, v8
	v_fmac_f32_e32 v33, 0x3ee1c552, v8
	v_fmac_f32_e32 v34, 0x3ee1c552, v2
	v_add_f32_e32 v8, v9, v3
	v_add_f32_e32 v9, v10, v4
	v_lshlrev_b64 v[25:26], 3, v[25:26]
	v_add_co_u32 v21, vcc_lo, v58, v21
	v_fmac_f32_e32 v32, 0x3ee1c552, v2
	v_add_f32_e32 v6, v11, v3
	v_add_f32_e32 v7, v30, v4
	v_add_co_ci_u32_e32 v22, vcc_lo, v77, v22, vcc_lo
	v_add_co_u32 v23, vcc_lo, v58, v23
	v_add_f32_e32 v0, v29, v12
	v_sub_f32_e32 v1, v13, v28
	v_add_f32_e32 v2, v34, v8
	v_sub_f32_e32 v3, v9, v33
	v_add_co_ci_u32_e32 v24, vcc_lo, v77, v24, vcc_lo
	v_sub_f32_e32 v4, v6, v32
	v_add_f32_e32 v5, v31, v7
	v_add_co_u32 v25, vcc_lo, v58, v25
	v_add_f32_e32 v6, v32, v6
	v_sub_f32_e32 v7, v7, v31
	v_sub_f32_e32 v8, v8, v34
	v_add_f32_e32 v9, v33, v9
	v_add_co_ci_u32_e32 v26, vcc_lo, v77, v26, vcc_lo
	v_sub_f32_e32 v10, v12, v29
	v_add_f32_e32 v11, v28, v13
	global_store_dwordx2 v[15:16], v[0:1], off
	global_store_dwordx2 v[17:18], v[2:3], off
	;; [unrolled: 1-line block ×6, first 2 shown]
.LBB0_20:
	s_endpgm
	.section	.rodata,"a",@progbits
	.p2align	6, 0x0
	.amdhsa_kernel fft_rtc_fwd_len2016_factors_2_2_2_2_2_3_3_7_wgs_224_tpt_112_halfLds_sp_op_CI_CI_sbrr_dirReg
		.amdhsa_group_segment_fixed_size 0
		.amdhsa_private_segment_fixed_size 0
		.amdhsa_kernarg_size 104
		.amdhsa_user_sgpr_count 6
		.amdhsa_user_sgpr_private_segment_buffer 1
		.amdhsa_user_sgpr_dispatch_ptr 0
		.amdhsa_user_sgpr_queue_ptr 0
		.amdhsa_user_sgpr_kernarg_segment_ptr 1
		.amdhsa_user_sgpr_dispatch_id 0
		.amdhsa_user_sgpr_flat_scratch_init 0
		.amdhsa_user_sgpr_private_segment_size 0
		.amdhsa_wavefront_size32 1
		.amdhsa_uses_dynamic_stack 0
		.amdhsa_system_sgpr_private_segment_wavefront_offset 0
		.amdhsa_system_sgpr_workgroup_id_x 1
		.amdhsa_system_sgpr_workgroup_id_y 0
		.amdhsa_system_sgpr_workgroup_id_z 0
		.amdhsa_system_sgpr_workgroup_info 0
		.amdhsa_system_vgpr_workitem_id 0
		.amdhsa_next_free_vgpr 108
		.amdhsa_next_free_sgpr 31
		.amdhsa_reserve_vcc 1
		.amdhsa_reserve_flat_scratch 0
		.amdhsa_float_round_mode_32 0
		.amdhsa_float_round_mode_16_64 0
		.amdhsa_float_denorm_mode_32 3
		.amdhsa_float_denorm_mode_16_64 3
		.amdhsa_dx10_clamp 1
		.amdhsa_ieee_mode 1
		.amdhsa_fp16_overflow 0
		.amdhsa_workgroup_processor_mode 1
		.amdhsa_memory_ordered 1
		.amdhsa_forward_progress 0
		.amdhsa_shared_vgpr_count 0
		.amdhsa_exception_fp_ieee_invalid_op 0
		.amdhsa_exception_fp_denorm_src 0
		.amdhsa_exception_fp_ieee_div_zero 0
		.amdhsa_exception_fp_ieee_overflow 0
		.amdhsa_exception_fp_ieee_underflow 0
		.amdhsa_exception_fp_ieee_inexact 0
		.amdhsa_exception_int_div_zero 0
	.end_amdhsa_kernel
	.text
.Lfunc_end0:
	.size	fft_rtc_fwd_len2016_factors_2_2_2_2_2_3_3_7_wgs_224_tpt_112_halfLds_sp_op_CI_CI_sbrr_dirReg, .Lfunc_end0-fft_rtc_fwd_len2016_factors_2_2_2_2_2_3_3_7_wgs_224_tpt_112_halfLds_sp_op_CI_CI_sbrr_dirReg
                                        ; -- End function
	.section	.AMDGPU.csdata,"",@progbits
; Kernel info:
; codeLenInByte = 14288
; NumSgprs: 33
; NumVgprs: 108
; ScratchSize: 0
; MemoryBound: 0
; FloatMode: 240
; IeeeMode: 1
; LDSByteSize: 0 bytes/workgroup (compile time only)
; SGPRBlocks: 4
; VGPRBlocks: 13
; NumSGPRsForWavesPerEU: 33
; NumVGPRsForWavesPerEU: 108
; Occupancy: 9
; WaveLimiterHint : 1
; COMPUTE_PGM_RSRC2:SCRATCH_EN: 0
; COMPUTE_PGM_RSRC2:USER_SGPR: 6
; COMPUTE_PGM_RSRC2:TRAP_HANDLER: 0
; COMPUTE_PGM_RSRC2:TGID_X_EN: 1
; COMPUTE_PGM_RSRC2:TGID_Y_EN: 0
; COMPUTE_PGM_RSRC2:TGID_Z_EN: 0
; COMPUTE_PGM_RSRC2:TIDIG_COMP_CNT: 0
	.text
	.p2alignl 6, 3214868480
	.fill 48, 4, 3214868480
	.type	__hip_cuid_99b98755d97f9a05,@object ; @__hip_cuid_99b98755d97f9a05
	.section	.bss,"aw",@nobits
	.globl	__hip_cuid_99b98755d97f9a05
__hip_cuid_99b98755d97f9a05:
	.byte	0                               ; 0x0
	.size	__hip_cuid_99b98755d97f9a05, 1

	.ident	"AMD clang version 19.0.0git (https://github.com/RadeonOpenCompute/llvm-project roc-6.4.0 25133 c7fe45cf4b819c5991fe208aaa96edf142730f1d)"
	.section	".note.GNU-stack","",@progbits
	.addrsig
	.addrsig_sym __hip_cuid_99b98755d97f9a05
	.amdgpu_metadata
---
amdhsa.kernels:
  - .args:
      - .actual_access:  read_only
        .address_space:  global
        .offset:         0
        .size:           8
        .value_kind:     global_buffer
      - .offset:         8
        .size:           8
        .value_kind:     by_value
      - .actual_access:  read_only
        .address_space:  global
        .offset:         16
        .size:           8
        .value_kind:     global_buffer
      - .actual_access:  read_only
        .address_space:  global
        .offset:         24
        .size:           8
        .value_kind:     global_buffer
      - .actual_access:  read_only
        .address_space:  global
        .offset:         32
        .size:           8
        .value_kind:     global_buffer
      - .offset:         40
        .size:           8
        .value_kind:     by_value
      - .actual_access:  read_only
        .address_space:  global
        .offset:         48
        .size:           8
        .value_kind:     global_buffer
      - .actual_access:  read_only
        .address_space:  global
        .offset:         56
        .size:           8
        .value_kind:     global_buffer
      - .offset:         64
        .size:           4
        .value_kind:     by_value
      - .actual_access:  read_only
        .address_space:  global
        .offset:         72
        .size:           8
        .value_kind:     global_buffer
      - .actual_access:  read_only
        .address_space:  global
        .offset:         80
        .size:           8
        .value_kind:     global_buffer
      - .actual_access:  read_only
        .address_space:  global
        .offset:         88
        .size:           8
        .value_kind:     global_buffer
      - .actual_access:  write_only
        .address_space:  global
        .offset:         96
        .size:           8
        .value_kind:     global_buffer
    .group_segment_fixed_size: 0
    .kernarg_segment_align: 8
    .kernarg_segment_size: 104
    .language:       OpenCL C
    .language_version:
      - 2
      - 0
    .max_flat_workgroup_size: 224
    .name:           fft_rtc_fwd_len2016_factors_2_2_2_2_2_3_3_7_wgs_224_tpt_112_halfLds_sp_op_CI_CI_sbrr_dirReg
    .private_segment_fixed_size: 0
    .sgpr_count:     33
    .sgpr_spill_count: 0
    .symbol:         fft_rtc_fwd_len2016_factors_2_2_2_2_2_3_3_7_wgs_224_tpt_112_halfLds_sp_op_CI_CI_sbrr_dirReg.kd
    .uniform_work_group_size: 1
    .uses_dynamic_stack: false
    .vgpr_count:     108
    .vgpr_spill_count: 0
    .wavefront_size: 32
    .workgroup_processor_mode: 1
amdhsa.target:   amdgcn-amd-amdhsa--gfx1030
amdhsa.version:
  - 1
  - 2
...

	.end_amdgpu_metadata
